;; amdgpu-corpus repo=ROCm/rocFFT kind=compiled arch=gfx1030 opt=O3
	.text
	.amdgcn_target "amdgcn-amd-amdhsa--gfx1030"
	.amdhsa_code_object_version 6
	.protected	fft_rtc_fwd_len2401_factors_7_7_7_7_wgs_49_tpt_49_halfLds_dp_ip_CI_sbrr_dirReg ; -- Begin function fft_rtc_fwd_len2401_factors_7_7_7_7_wgs_49_tpt_49_halfLds_dp_ip_CI_sbrr_dirReg
	.globl	fft_rtc_fwd_len2401_factors_7_7_7_7_wgs_49_tpt_49_halfLds_dp_ip_CI_sbrr_dirReg
	.p2align	8
	.type	fft_rtc_fwd_len2401_factors_7_7_7_7_wgs_49_tpt_49_halfLds_dp_ip_CI_sbrr_dirReg,@function
fft_rtc_fwd_len2401_factors_7_7_7_7_wgs_49_tpt_49_halfLds_dp_ip_CI_sbrr_dirReg: ; @fft_rtc_fwd_len2401_factors_7_7_7_7_wgs_49_tpt_49_halfLds_dp_ip_CI_sbrr_dirReg
; %bb.0:
	s_clause 0x2
	s_load_dwordx2 s[14:15], s[4:5], 0x18
	s_load_dwordx4 s[8:11], s[4:5], 0x0
	s_load_dwordx2 s[12:13], s[4:5], 0x50
	s_mov_b64 s[30:31], s[2:3]
	s_mov_b64 s[28:29], s[0:1]
	v_mul_u32_u24_e32 v1, 0x53a, v0
	v_mov_b32_e32 v3, 0
	s_add_u32 s28, s28, s7
	s_addc_u32 s29, s29, 0
	v_add_nc_u32_sdwa v5, s6, v1 dst_sel:DWORD dst_unused:UNUSED_PAD src0_sel:DWORD src1_sel:WORD_1
	v_mov_b32_e32 v1, 0
	v_mov_b32_e32 v6, v3
	;; [unrolled: 1-line block ×3, first 2 shown]
	s_waitcnt lgkmcnt(0)
	s_load_dwordx2 s[2:3], s[14:15], 0x0
	v_cmp_lt_u64_e64 s0, s[10:11], 2
	s_and_b32 vcc_lo, exec_lo, s0
	s_cbranch_vccnz .LBB0_8
; %bb.1:
	s_load_dwordx2 s[0:1], s[4:5], 0x10
	v_mov_b32_e32 v1, 0
	s_add_u32 s6, s14, 8
	v_mov_b32_e32 v2, 0
	s_addc_u32 s7, s15, 0
	s_mov_b64 s[18:19], 1
	s_waitcnt lgkmcnt(0)
	s_add_u32 s16, s0, 8
	s_addc_u32 s17, s1, 0
.LBB0_2:                                ; =>This Inner Loop Header: Depth=1
	s_load_dwordx2 s[20:21], s[16:17], 0x0
                                        ; implicit-def: $vgpr7_vgpr8
	s_mov_b32 s0, exec_lo
	s_waitcnt lgkmcnt(0)
	v_or_b32_e32 v4, s21, v6
	v_cmpx_ne_u64_e32 0, v[3:4]
	s_xor_b32 s1, exec_lo, s0
	s_cbranch_execz .LBB0_4
; %bb.3:                                ;   in Loop: Header=BB0_2 Depth=1
	v_cvt_f32_u32_e32 v4, s20
	v_cvt_f32_u32_e32 v7, s21
	s_sub_u32 s0, 0, s20
	s_subb_u32 s22, 0, s21
	v_fmac_f32_e32 v4, 0x4f800000, v7
	v_rcp_f32_e32 v4, v4
	v_mul_f32_e32 v4, 0x5f7ffffc, v4
	v_mul_f32_e32 v7, 0x2f800000, v4
	v_trunc_f32_e32 v7, v7
	v_fmac_f32_e32 v4, 0xcf800000, v7
	v_cvt_u32_f32_e32 v7, v7
	v_cvt_u32_f32_e32 v4, v4
	v_mul_lo_u32 v8, s0, v7
	v_mul_hi_u32 v9, s0, v4
	v_mul_lo_u32 v10, s22, v4
	v_add_nc_u32_e32 v8, v9, v8
	v_mul_lo_u32 v9, s0, v4
	v_add_nc_u32_e32 v8, v8, v10
	v_mul_hi_u32 v10, v4, v9
	v_mul_lo_u32 v11, v4, v8
	v_mul_hi_u32 v12, v4, v8
	v_mul_hi_u32 v13, v7, v9
	v_mul_lo_u32 v9, v7, v9
	v_mul_hi_u32 v14, v7, v8
	v_mul_lo_u32 v8, v7, v8
	v_add_co_u32 v10, vcc_lo, v10, v11
	v_add_co_ci_u32_e32 v11, vcc_lo, 0, v12, vcc_lo
	v_add_co_u32 v9, vcc_lo, v10, v9
	v_add_co_ci_u32_e32 v9, vcc_lo, v11, v13, vcc_lo
	v_add_co_ci_u32_e32 v10, vcc_lo, 0, v14, vcc_lo
	v_add_co_u32 v8, vcc_lo, v9, v8
	v_add_co_ci_u32_e32 v9, vcc_lo, 0, v10, vcc_lo
	v_add_co_u32 v4, vcc_lo, v4, v8
	v_add_co_ci_u32_e32 v7, vcc_lo, v7, v9, vcc_lo
	v_mul_hi_u32 v8, s0, v4
	v_mul_lo_u32 v10, s22, v4
	v_mul_lo_u32 v9, s0, v7
	v_add_nc_u32_e32 v8, v8, v9
	v_mul_lo_u32 v9, s0, v4
	v_add_nc_u32_e32 v8, v8, v10
	v_mul_hi_u32 v10, v4, v9
	v_mul_lo_u32 v11, v4, v8
	v_mul_hi_u32 v12, v4, v8
	v_mul_hi_u32 v13, v7, v9
	v_mul_lo_u32 v9, v7, v9
	v_mul_hi_u32 v14, v7, v8
	v_mul_lo_u32 v8, v7, v8
	v_add_co_u32 v10, vcc_lo, v10, v11
	v_add_co_ci_u32_e32 v11, vcc_lo, 0, v12, vcc_lo
	v_add_co_u32 v9, vcc_lo, v10, v9
	v_add_co_ci_u32_e32 v9, vcc_lo, v11, v13, vcc_lo
	v_add_co_ci_u32_e32 v10, vcc_lo, 0, v14, vcc_lo
	v_add_co_u32 v8, vcc_lo, v9, v8
	v_add_co_ci_u32_e32 v9, vcc_lo, 0, v10, vcc_lo
	v_add_co_u32 v4, vcc_lo, v4, v8
	v_add_co_ci_u32_e32 v11, vcc_lo, v7, v9, vcc_lo
	v_mul_hi_u32 v13, v5, v4
	v_mad_u64_u32 v[9:10], null, v6, v4, 0
	v_mad_u64_u32 v[7:8], null, v5, v11, 0
	v_mad_u64_u32 v[11:12], null, v6, v11, 0
	v_add_co_u32 v4, vcc_lo, v13, v7
	v_add_co_ci_u32_e32 v7, vcc_lo, 0, v8, vcc_lo
	v_add_co_u32 v4, vcc_lo, v4, v9
	v_add_co_ci_u32_e32 v4, vcc_lo, v7, v10, vcc_lo
	v_add_co_ci_u32_e32 v7, vcc_lo, 0, v12, vcc_lo
	v_add_co_u32 v4, vcc_lo, v4, v11
	v_add_co_ci_u32_e32 v9, vcc_lo, 0, v7, vcc_lo
	v_mul_lo_u32 v10, s21, v4
	v_mad_u64_u32 v[7:8], null, s20, v4, 0
	v_mul_lo_u32 v11, s20, v9
	v_sub_co_u32 v7, vcc_lo, v5, v7
	v_add3_u32 v8, v8, v11, v10
	v_sub_nc_u32_e32 v10, v6, v8
	v_subrev_co_ci_u32_e64 v10, s0, s21, v10, vcc_lo
	v_add_co_u32 v11, s0, v4, 2
	v_add_co_ci_u32_e64 v12, s0, 0, v9, s0
	v_sub_co_u32 v13, s0, v7, s20
	v_sub_co_ci_u32_e32 v8, vcc_lo, v6, v8, vcc_lo
	v_subrev_co_ci_u32_e64 v10, s0, 0, v10, s0
	v_cmp_le_u32_e32 vcc_lo, s20, v13
	v_cmp_eq_u32_e64 s0, s21, v8
	v_cndmask_b32_e64 v13, 0, -1, vcc_lo
	v_cmp_le_u32_e32 vcc_lo, s21, v10
	v_cndmask_b32_e64 v14, 0, -1, vcc_lo
	v_cmp_le_u32_e32 vcc_lo, s20, v7
	;; [unrolled: 2-line block ×3, first 2 shown]
	v_cndmask_b32_e64 v15, 0, -1, vcc_lo
	v_cmp_eq_u32_e32 vcc_lo, s21, v10
	v_cndmask_b32_e64 v7, v15, v7, s0
	v_cndmask_b32_e32 v10, v14, v13, vcc_lo
	v_add_co_u32 v13, vcc_lo, v4, 1
	v_add_co_ci_u32_e32 v14, vcc_lo, 0, v9, vcc_lo
	v_cmp_ne_u32_e32 vcc_lo, 0, v10
	v_cndmask_b32_e32 v8, v14, v12, vcc_lo
	v_cndmask_b32_e32 v10, v13, v11, vcc_lo
	v_cmp_ne_u32_e32 vcc_lo, 0, v7
	v_cndmask_b32_e32 v8, v9, v8, vcc_lo
	v_cndmask_b32_e32 v7, v4, v10, vcc_lo
.LBB0_4:                                ;   in Loop: Header=BB0_2 Depth=1
	s_andn2_saveexec_b32 s0, s1
	s_cbranch_execz .LBB0_6
; %bb.5:                                ;   in Loop: Header=BB0_2 Depth=1
	v_cvt_f32_u32_e32 v4, s20
	s_sub_i32 s1, 0, s20
	v_rcp_iflag_f32_e32 v4, v4
	v_mul_f32_e32 v4, 0x4f7ffffe, v4
	v_cvt_u32_f32_e32 v4, v4
	v_mul_lo_u32 v7, s1, v4
	v_mul_hi_u32 v7, v4, v7
	v_add_nc_u32_e32 v4, v4, v7
	v_mul_hi_u32 v4, v5, v4
	v_mul_lo_u32 v7, v4, s20
	v_add_nc_u32_e32 v8, 1, v4
	v_sub_nc_u32_e32 v7, v5, v7
	v_subrev_nc_u32_e32 v9, s20, v7
	v_cmp_le_u32_e32 vcc_lo, s20, v7
	v_cndmask_b32_e32 v7, v7, v9, vcc_lo
	v_cndmask_b32_e32 v4, v4, v8, vcc_lo
	v_cmp_le_u32_e32 vcc_lo, s20, v7
	v_add_nc_u32_e32 v8, 1, v4
	v_cndmask_b32_e32 v7, v4, v8, vcc_lo
	v_mov_b32_e32 v8, v3
.LBB0_6:                                ;   in Loop: Header=BB0_2 Depth=1
	s_or_b32 exec_lo, exec_lo, s0
	s_load_dwordx2 s[0:1], s[6:7], 0x0
	v_mul_lo_u32 v4, v8, s20
	v_mul_lo_u32 v11, v7, s21
	v_mad_u64_u32 v[9:10], null, v7, s20, 0
	s_add_u32 s18, s18, 1
	s_addc_u32 s19, s19, 0
	s_add_u32 s6, s6, 8
	s_addc_u32 s7, s7, 0
	;; [unrolled: 2-line block ×3, first 2 shown]
	v_add3_u32 v4, v10, v11, v4
	v_sub_co_u32 v5, vcc_lo, v5, v9
	v_sub_co_ci_u32_e32 v4, vcc_lo, v6, v4, vcc_lo
	s_waitcnt lgkmcnt(0)
	v_mul_lo_u32 v6, s1, v5
	v_mul_lo_u32 v4, s0, v4
	v_mad_u64_u32 v[1:2], null, s0, v5, v[1:2]
	v_cmp_ge_u64_e64 s0, s[18:19], s[10:11]
	s_and_b32 vcc_lo, exec_lo, s0
	v_add3_u32 v2, v6, v2, v4
	s_cbranch_vccnz .LBB0_9
; %bb.7:                                ;   in Loop: Header=BB0_2 Depth=1
	v_mov_b32_e32 v5, v7
	v_mov_b32_e32 v6, v8
	s_branch .LBB0_2
.LBB0_8:
	v_mov_b32_e32 v8, v6
	v_mov_b32_e32 v7, v5
.LBB0_9:
	s_lshl_b64 s[0:1], s[10:11], 3
	v_mul_hi_u32 v3, 0x539782a, v0
	s_add_u32 s0, s14, s0
	s_addc_u32 s1, s15, s1
	s_load_dwordx2 s[4:5], s[4:5], 0x20
	s_load_dwordx2 s[0:1], s[0:1], 0x0
                                        ; implicit-def: $vgpr236
                                        ; implicit-def: $vgpr252
                                        ; implicit-def: $vgpr230
                                        ; implicit-def: $vgpr248
                                        ; implicit-def: $vgpr249
                                        ; implicit-def: $vgpr228
	v_mul_u32_u24_e32 v3, 49, v3
	v_sub_nc_u32_e32 v231, v0, v3
	s_waitcnt lgkmcnt(0)
	v_cmp_gt_u64_e32 vcc_lo, s[4:5], v[7:8]
	v_mul_lo_u32 v3, s0, v8
	v_mul_lo_u32 v4, s1, v7
	v_mad_u64_u32 v[0:1], null, s0, v7, v[1:2]
	v_add_nc_u32_e32 v2, 0xf5, v231
	v_cmp_le_u64_e64 s0, s[4:5], v[7:8]
	buffer_store_dword v2, off, s[28:31], 0 offset:120 ; 4-byte Folded Spill
	v_add3_u32 v1, v4, v1, v3
	v_add_nc_u32_e32 v2, 0x126, v231
	buffer_store_dword v2, off, s[28:31], 0 offset:116 ; 4-byte Folded Spill
	s_and_saveexec_b32 s1, s0
	s_xor_b32 s0, exec_lo, s1
; %bb.10:
	v_add_nc_u32_e32 v236, 49, v231
	v_add_nc_u32_e32 v252, 0x62, v231
	;; [unrolled: 1-line block ×6, first 2 shown]
; %bb.11:
	s_or_saveexec_b32 s1, s0
	v_lshlrev_b64 v[0:1], 4, v[0:1]
                                        ; implicit-def: $vgpr10_vgpr11
                                        ; implicit-def: $vgpr26_vgpr27
                                        ; implicit-def: $vgpr18_vgpr19
                                        ; implicit-def: $vgpr14_vgpr15
                                        ; implicit-def: $vgpr22_vgpr23
                                        ; implicit-def: $vgpr6_vgpr7
                                        ; implicit-def: $vgpr2_vgpr3
                                        ; implicit-def: $vgpr38_vgpr39
                                        ; implicit-def: $vgpr54_vgpr55
                                        ; implicit-def: $vgpr46_vgpr47
                                        ; implicit-def: $vgpr42_vgpr43
                                        ; implicit-def: $vgpr50_vgpr51
                                        ; implicit-def: $vgpr34_vgpr35
                                        ; implicit-def: $vgpr30_vgpr31
                                        ; implicit-def: $vgpr66_vgpr67
                                        ; implicit-def: $vgpr82_vgpr83
                                        ; implicit-def: $vgpr74_vgpr75
                                        ; implicit-def: $vgpr70_vgpr71
                                        ; implicit-def: $vgpr78_vgpr79
                                        ; implicit-def: $vgpr62_vgpr63
                                        ; implicit-def: $vgpr58_vgpr59
                                        ; implicit-def: $vgpr94_vgpr95
                                        ; implicit-def: $vgpr110_vgpr111
                                        ; implicit-def: $vgpr102_vgpr103
                                        ; implicit-def: $vgpr98_vgpr99
                                        ; implicit-def: $vgpr106_vgpr107
                                        ; implicit-def: $vgpr90_vgpr91
                                        ; implicit-def: $vgpr86_vgpr87
                                        ; implicit-def: $vgpr122_vgpr123
                                        ; implicit-def: $vgpr138_vgpr139
                                        ; implicit-def: $vgpr130_vgpr131
                                        ; implicit-def: $vgpr126_vgpr127
                                        ; implicit-def: $vgpr134_vgpr135
                                        ; implicit-def: $vgpr118_vgpr119
                                        ; implicit-def: $vgpr114_vgpr115
                                        ; implicit-def: $vgpr170_vgpr171
                                        ; implicit-def: $vgpr158_vgpr159
                                        ; implicit-def: $vgpr150_vgpr151
                                        ; implicit-def: $vgpr146_vgpr147
                                        ; implicit-def: $vgpr154_vgpr155
                                        ; implicit-def: $vgpr166_vgpr167
                                        ; implicit-def: $vgpr142_vgpr143
                                        ; implicit-def: $vgpr178_vgpr179
                                        ; implicit-def: $vgpr194_vgpr195
                                        ; implicit-def: $vgpr186_vgpr187
                                        ; implicit-def: $vgpr182_vgpr183
                                        ; implicit-def: $vgpr190_vgpr191
                                        ; implicit-def: $vgpr174_vgpr175
                                        ; implicit-def: $vgpr162_vgpr163
	buffer_store_dword v0, off, s[28:31], 0 offset:32 ; 4-byte Folded Spill
	buffer_store_dword v1, off, s[28:31], 0 offset:36 ; 4-byte Folded Spill
	s_xor_b32 exec_lo, exec_lo, s1
	s_cbranch_execz .LBB0_13
; %bb.12:
	v_add_nc_u32_e32 v10, 0x157, v231
	v_add_nc_u32_e32 v12, 0x2ae, v231
	v_mad_u64_u32 v[0:1], null, s2, v231, 0
	v_add_nc_u32_e32 v14, 0x55c, v231
	v_mad_u64_u32 v[2:3], null, s2, v10, 0
	v_mad_u64_u32 v[6:7], null, s2, v12, 0
	v_add_nc_u32_e32 v16, 0x6b3, v231
	v_add_nc_u32_e32 v18, 0x80a, v231
	;; [unrolled: 1-line block ×4, first 2 shown]
	v_mad_u64_u32 v[4:5], null, s3, v231, v[1:2]
	v_mov_b32_e32 v1, v7
	v_add_nc_u32_e32 v5, 0x405, v231
	v_add_nc_u32_e32 v32, 0x6e4, v231
	;; [unrolled: 1-line block ×5, first 2 shown]
	v_mad_u64_u32 v[10:11], null, s3, v10, v[3:4]
	v_mad_u64_u32 v[11:12], null, s3, v12, v[1:2]
	v_mov_b32_e32 v1, v4
	s_clause 0x1
	buffer_load_dword v3, off, s[28:31], 0 offset:32
	buffer_load_dword v4, off, s[28:31], 0 offset:36
	v_mad_u64_u32 v[8:9], null, s2, v5, 0
	v_mad_u64_u32 v[12:13], null, s2, v14, 0
	v_lshlrev_b64 v[0:1], 4, v[0:1]
	v_mov_b32_e32 v7, v11
	v_mad_u64_u32 v[34:35], null, s2, v38, 0
	v_add_nc_u32_e32 v44, 0x5be, v231
	v_add_nc_u32_e32 v48, 0x86c, v231
	v_lshlrev_b64 v[6:7], 4, v[6:7]
	v_add_nc_u32_e32 v237, 0x93, v231
	v_add_nc_u32_e32 v54, 0x341, v231
	v_mad_u64_u32 v[40:41], null, s2, v44, 0
	v_add_nc_u32_e32 v56, 0x498, v231
	v_mad_u64_u32 v[46:47], null, s2, v237, 0
	v_mad_u64_u32 v[50:51], null, s2, v54, 0
	;; [unrolled: 1-line block ×3, first 2 shown]
	v_add_nc_u32_e32 v60, 0x5ef, v231
	v_add_nc_u32_e32 v62, 0x746, v231
	;; [unrolled: 1-line block ×13, first 2 shown]
	v_mov_b32_e32 v248, v230
	v_mad_u64_u32 v[73:74], null, s2, v77, 0
	v_mov_b32_e32 v236, v232
	s_waitcnt vmcnt(1)
	v_add_co_u32 v58, s0, s12, v3
	v_mov_b32_e32 v3, v10
	s_waitcnt vmcnt(0)
	v_add_co_ci_u32_e64 v59, s0, s13, v4, s0
	v_mov_b32_e32 v4, v9
	v_lshlrev_b64 v[9:10], 4, v[2:3]
	v_add_co_u32 v2, s0, v58, v0
	v_add_co_ci_u32_e64 v3, s0, v59, v1, s0
	v_mad_u64_u32 v[0:1], null, s3, v5, v[4:5]
	v_add_co_u32 v4, s0, v58, v9
	v_add_co_ci_u32_e64 v5, s0, v59, v10, s0
	v_mov_b32_e32 v1, v13
	v_mad_u64_u32 v[10:11], null, s2, v16, 0
	v_mov_b32_e32 v9, v0
	v_add_co_u32 v0, s0, v58, v6
	v_mad_u64_u32 v[13:14], null, s3, v14, v[1:2]
	v_mad_u64_u32 v[14:15], null, s2, v18, 0
	v_add_co_ci_u32_e64 v1, s0, v59, v7, s0
	v_lshlrev_b64 v[6:7], 4, v[8:9]
	v_mov_b32_e32 v8, v11
	v_lshlrev_b64 v[12:13], 4, v[12:13]
	s_clause 0x1
	global_load_dwordx4 v[160:163], v[2:3], off
	global_load_dwordx4 v[172:175], v[4:5], off
	v_mad_u64_u32 v[8:9], null, s3, v16, v[8:9]
	v_mov_b32_e32 v9, v15
	v_mad_u64_u32 v[16:17], null, s2, v232, 0
	v_add_co_u32 v6, s0, v58, v6
	v_mad_u64_u32 v[18:19], null, s3, v18, v[9:10]
	v_add_co_ci_u32_e64 v7, s0, v59, v7, s0
	v_mov_b32_e32 v11, v8
	v_add_co_u32 v8, s0, v58, v12
	v_mov_b32_e32 v12, v17
	v_mad_u64_u32 v[19:20], null, s2, v23, 0
	v_add_co_ci_u32_e64 v9, s0, v59, v13, s0
	v_mad_u64_u32 v[12:13], null, s3, v232, v[12:13]
	v_mov_b32_e32 v15, v18
	v_add_nc_u32_e32 v18, 0x2df, v231
	v_lshlrev_b64 v[10:11], 4, v[10:11]
	v_lshlrev_b64 v[13:14], 4, v[14:15]
	v_mad_u64_u32 v[21:22], null, s2, v18, 0
	v_mov_b32_e32 v15, v20
	v_add_co_u32 v10, s0, v58, v10
	v_mov_b32_e32 v17, v12
	v_add_co_ci_u32_e64 v11, s0, v59, v11, s0
	v_add_co_u32 v12, s0, v58, v13
	v_mad_u64_u32 v[23:24], null, s3, v23, v[15:16]
	v_add_co_ci_u32_e64 v13, s0, v59, v14, s0
	v_lshlrev_b64 v[14:15], 4, v[16:17]
	v_mov_b32_e32 v16, v22
	v_add_nc_u32_e32 v22, 0x436, v231
	v_mov_b32_e32 v20, v23
	v_add_nc_u32_e32 v23, 0x58d, v231
	v_mad_u64_u32 v[16:17], null, s3, v18, v[16:17]
	v_mad_u64_u32 v[24:25], null, s2, v22, 0
	v_lshlrev_b64 v[18:19], 4, v[19:20]
	v_mad_u64_u32 v[26:27], null, s2, v23, 0
	v_add_co_u32 v14, s0, v58, v14
	v_add_co_ci_u32_e64 v15, s0, v59, v15, s0
	v_mov_b32_e32 v17, v25
	v_mov_b32_e32 v20, v27
	v_mad_u64_u32 v[28:29], null, s3, v22, v[17:18]
	v_mov_b32_e32 v22, v16
	v_add_co_u32 v16, s0, v58, v18
	v_add_co_ci_u32_e64 v17, s0, v59, v19, s0
	v_lshlrev_b64 v[18:19], 4, v[21:22]
	v_mov_b32_e32 v25, v28
	v_mad_u64_u32 v[28:29], null, s2, v32, 0
	v_mad_u64_u32 v[20:21], null, s3, v23, v[20:21]
	v_lshlrev_b64 v[21:22], 4, v[24:25]
	v_add_co_u32 v18, s0, v58, v18
	v_add_co_ci_u32_e64 v19, s0, v59, v19, s0
	v_mov_b32_e32 v23, v29
	v_add_nc_u32_e32 v29, 0x83b, v231
	v_mov_b32_e32 v27, v20
	v_add_co_u32 v20, s0, v58, v21
	v_mad_u64_u32 v[23:24], null, s3, v32, v[23:24]
	v_mad_u64_u32 v[30:31], null, s2, v29, 0
	v_add_co_ci_u32_e64 v21, s0, v59, v22, s0
	v_mad_u64_u32 v[32:33], null, s2, v252, 0
	v_lshlrev_b64 v[24:25], 4, v[26:27]
	v_mov_b32_e32 v22, v31
	v_mad_u64_u32 v[26:27], null, s3, v29, v[22:23]
	v_mov_b32_e32 v29, v23
	v_add_co_u32 v22, s0, v58, v24
	v_mov_b32_e32 v27, v33
	v_add_co_ci_u32_e64 v23, s0, v59, v25, s0
	v_lshlrev_b64 v[24:25], 4, v[28:29]
	v_mov_b32_e32 v31, v26
	v_mov_b32_e32 v29, v35
	v_add_nc_u32_e32 v35, 0x310, v231
	v_mad_u64_u32 v[26:27], null, s3, v252, v[27:28]
	v_lshlrev_b64 v[27:28], 4, v[30:31]
	v_add_co_u32 v24, s0, v58, v24
	v_mad_u64_u32 v[36:37], null, s2, v35, 0
	v_add_co_ci_u32_e64 v25, s0, v59, v25, s0
	v_mad_u64_u32 v[29:30], null, s3, v38, v[29:30]
	v_mov_b32_e32 v33, v26
	v_add_co_u32 v26, s0, v58, v27
	v_add_co_ci_u32_e64 v27, s0, v59, v28, s0
	v_mov_b32_e32 v28, v37
	v_mad_u64_u32 v[38:39], null, s2, v42, 0
	v_lshlrev_b64 v[30:31], 4, v[32:33]
	v_mad_u64_u32 v[32:33], null, s3, v35, v[28:29]
	v_mov_b32_e32 v35, v29
	v_add_co_u32 v28, s0, v58, v30
	v_mov_b32_e32 v33, v39
	v_add_co_ci_u32_e64 v29, s0, v59, v31, s0
	v_lshlrev_b64 v[30:31], 4, v[34:35]
	v_mov_b32_e32 v37, v32
	v_mov_b32_e32 v35, v41
	v_add_nc_u32_e32 v41, 0x715, v231
	v_mad_u64_u32 v[32:33], null, s3, v42, v[33:34]
	v_lshlrev_b64 v[33:34], 4, v[36:37]
	v_add_co_u32 v30, s0, v58, v30
	v_mad_u64_u32 v[42:43], null, s2, v41, 0
	v_add_co_ci_u32_e64 v31, s0, v59, v31, s0
	v_mad_u64_u32 v[35:36], null, s3, v44, v[35:36]
	v_mov_b32_e32 v39, v32
	v_add_co_u32 v32, s0, v58, v33
	v_add_co_ci_u32_e64 v33, s0, v59, v34, s0
	v_mov_b32_e32 v34, v43
	v_mad_u64_u32 v[44:45], null, s2, v48, 0
	v_lshlrev_b64 v[36:37], 4, v[38:39]
	v_mad_u64_u32 v[38:39], null, s3, v41, v[34:35]
	v_mov_b32_e32 v41, v35
	v_add_co_u32 v34, s0, v58, v36
	v_mov_b32_e32 v39, v45
	v_add_co_ci_u32_e64 v35, s0, v59, v37, s0
	v_lshlrev_b64 v[36:37], 4, v[40:41]
	v_mov_b32_e32 v43, v38
	v_mov_b32_e32 v41, v47
	v_add_nc_u32_e32 v47, 0x1ea, v231
	v_mad_u64_u32 v[38:39], null, s3, v48, v[39:40]
	v_lshlrev_b64 v[39:40], 4, v[42:43]
	v_add_co_u32 v36, s0, v58, v36
	v_mad_u64_u32 v[48:49], null, s2, v47, 0
	v_add_co_ci_u32_e64 v37, s0, v59, v37, s0
	v_mad_u64_u32 v[41:42], null, s3, v237, v[41:42]
	v_mov_b32_e32 v45, v38
	v_add_co_u32 v38, s0, v58, v39
	v_add_co_ci_u32_e64 v39, s0, v59, v40, s0
	v_mov_b32_e32 v40, v49
	v_lshlrev_b64 v[42:43], 4, v[44:45]
	v_mad_u64_u32 v[44:45], null, s3, v47, v[40:41]
	v_mov_b32_e32 v45, v51
	v_mov_b32_e32 v47, v41
	v_add_co_u32 v40, s0, v58, v42
	v_add_co_ci_u32_e64 v41, s0, v59, v43, s0
	v_mov_b32_e32 v49, v44
	v_mad_u64_u32 v[44:45], null, s3, v54, v[45:46]
	v_lshlrev_b64 v[42:43], 4, v[46:47]
	v_mov_b32_e32 v47, v53
	v_lshlrev_b64 v[45:46], 4, v[48:49]
	v_mad_u64_u32 v[54:55], null, s2, v60, 0
	v_mov_b32_e32 v51, v44
	v_add_co_u32 v42, s0, v58, v42
	v_add_co_ci_u32_e64 v43, s0, v59, v43, s0
	v_mad_u64_u32 v[47:48], null, s3, v56, v[47:48]
	v_mad_u64_u32 v[56:57], null, s2, v62, 0
	v_add_co_u32 v44, s0, v58, v45
	v_lshlrev_b64 v[48:49], 4, v[50:51]
	v_add_co_ci_u32_e64 v45, s0, v59, v46, s0
	v_mov_b32_e32 v46, v55
	v_mov_b32_e32 v53, v47
	v_mad_u64_u32 v[50:51], null, s3, v60, v[46:47]
	v_add_co_u32 v46, s0, v58, v48
	v_mov_b32_e32 v48, v57
	v_lshlrev_b64 v[51:52], 4, v[52:53]
	v_mad_u64_u32 v[60:61], null, s2, v64, 0
	v_add_co_ci_u32_e64 v47, s0, v59, v49, s0
	v_mad_u64_u32 v[62:63], null, s3, v62, v[48:49]
	v_add_co_u32 v48, s0, v58, v51
	v_add_co_ci_u32_e64 v49, s0, v59, v52, s0
	v_mov_b32_e32 v52, v61
	v_mov_b32_e32 v55, v50
	;; [unrolled: 1-line block ×3, first 2 shown]
	v_mad_u64_u32 v[62:63], null, s2, v230, 0
	v_mad_u64_u32 v[52:53], null, s3, v64, v[52:53]
	v_lshlrev_b64 v[50:51], 4, v[54:55]
	v_lshlrev_b64 v[53:54], 4, v[56:57]
	v_mad_u64_u32 v[64:65], null, s2, v66, 0
	v_mov_b32_e32 v55, v63
	v_add_co_u32 v50, s0, v58, v50
	v_mov_b32_e32 v61, v52
	v_mad_u64_u32 v[55:56], null, s3, v230, v[55:56]
	v_add_co_ci_u32_e64 v51, s0, v59, v51, s0
	v_add_co_u32 v52, s0, v58, v53
	v_add_co_ci_u32_e64 v53, s0, v59, v54, s0
	v_mov_b32_e32 v54, v65
	v_lshlrev_b64 v[56:57], 4, v[60:61]
	v_mov_b32_e32 v63, v55
	v_mad_u64_u32 v[60:61], null, s2, v67, 0
	v_mad_u64_u32 v[65:66], null, s3, v66, v[54:55]
	v_add_co_u32 v54, s0, v58, v56
	v_add_co_ci_u32_e64 v55, s0, v59, v57, s0
	v_lshlrev_b64 v[56:57], 4, v[62:63]
	v_mad_u64_u32 v[62:63], null, s2, v68, 0
	v_lshlrev_b64 v[64:65], 4, v[64:65]
	v_mov_b32_e32 v230, v237
	v_add_co_u32 v56, s0, v58, v56
	v_add_co_ci_u32_e64 v57, s0, v59, v57, s0
	v_mad_u64_u32 v[66:67], null, s3, v67, v[61:62]
	v_mad_u64_u32 v[68:69], null, s3, v68, v[63:64]
	v_add_co_u32 v64, s0, v58, v64
	v_add_co_ci_u32_e64 v65, s0, v59, v65, s0
	v_mov_b32_e32 v61, v66
	v_mad_u64_u32 v[66:67], null, s2, v70, 0
	v_mov_b32_e32 v63, v68
	v_mad_u64_u32 v[68:69], null, s2, v75, 0
	v_lshlrev_b64 v[60:61], 4, v[60:61]
	v_mad_u64_u32 v[70:71], null, s3, v70, v[67:68]
	v_add_co_u32 v71, s0, v58, v60
	v_add_co_ci_u32_e64 v72, s0, v59, v61, s0
	v_lshlrev_b64 v[61:62], 4, v[62:63]
	v_mov_b32_e32 v60, v69
	v_mov_b32_e32 v67, v70
	v_add_nc_u32_e32 v70, 0x24c, v231
	v_mad_u64_u32 v[75:76], null, s3, v75, v[60:61]
	v_add_co_u32 v80, s0, v58, v61
	v_add_co_ci_u32_e64 v81, s0, v59, v62, s0
	v_lshlrev_b64 v[60:61], 4, v[66:67]
	v_mov_b32_e32 v62, v74
	v_mad_u64_u32 v[66:67], null, s2, v249, 0
	v_mov_b32_e32 v69, v75
	v_add_nc_u32_e32 v75, 0x3a3, v231
	v_mad_u64_u32 v[62:63], null, s3, v77, v[62:63]
	v_add_co_u32 v82, s0, v58, v60
	v_add_co_ci_u32_e64 v83, s0, v59, v61, s0
	v_lshlrev_b64 v[60:61], 4, v[68:69]
	v_mov_b32_e32 v63, v67
	v_mad_u64_u32 v[68:69], null, s2, v70, 0
	v_mov_b32_e32 v74, v62
	v_add_nc_u32_e32 v77, 0x8ff, v231
	v_mad_u64_u32 v[62:63], null, s3, v249, v[63:64]
	v_add_co_u32 v196, s0, v58, v60
	v_mov_b32_e32 v63, v69
	v_add_co_ci_u32_e64 v197, s0, v59, v61, s0
	v_lshlrev_b64 v[60:61], 4, v[73:74]
	v_mad_u64_u32 v[73:74], null, s2, v75, 0
	v_mov_b32_e32 v67, v62
	v_mad_u64_u32 v[62:63], null, s3, v70, v[63:64]
	v_add_nc_u32_e32 v70, 0x4fa, v231
	v_add_co_u32 v198, s0, v58, v60
	v_add_co_ci_u32_e64 v199, s0, v59, v61, s0
	v_lshlrev_b64 v[60:61], 4, v[66:67]
	v_mad_u64_u32 v[66:67], null, s2, v70, 0
	v_mov_b32_e32 v63, v74
	v_mov_b32_e32 v69, v62
	v_add_co_u32 v200, s0, v58, v60
	v_mad_u64_u32 v[62:63], null, s3, v75, v[63:64]
	v_mov_b32_e32 v60, v67
	v_add_nc_u32_e32 v63, 0x651, v231
	v_lshlrev_b64 v[67:68], 4, v[68:69]
	v_add_co_ci_u32_e64 v201, s0, v59, v61, s0
	v_mad_u64_u32 v[60:61], null, s3, v70, v[60:61]
	v_mov_b32_e32 v74, v62
	v_mad_u64_u32 v[61:62], null, s2, v63, 0
	v_add_nc_u32_e32 v70, 0x7a8, v231
	v_add_co_u32 v202, s0, v58, v67
	v_add_co_ci_u32_e64 v203, s0, v59, v68, s0
	v_lshlrev_b64 v[68:69], 4, v[73:74]
	v_mad_u64_u32 v[73:74], null, s2, v70, 0
	v_mov_b32_e32 v67, v60
	v_mov_b32_e32 v60, v62
	v_mad_u64_u32 v[75:76], null, s2, v77, 0
	v_add_co_u32 v204, s0, v58, v68
	v_mad_u64_u32 v[62:63], null, s3, v63, v[60:61]
	v_mov_b32_e32 v60, v74
	v_add_co_ci_u32_e64 v205, s0, v59, v69, s0
	v_lshlrev_b64 v[66:67], 4, v[66:67]
	v_mov_b32_e32 v63, v76
	v_mad_u64_u32 v[68:69], null, s3, v70, v[60:61]
	v_mad_u64_u32 v[69:70], null, s2, v228, 0
	v_add_co_u32 v206, s0, v58, v66
	v_mad_u64_u32 v[76:77], null, s3, v77, v[63:64]
	v_mov_b32_e32 v74, v68
	v_add_nc_u32_e32 v68, 0x27d, v231
	v_add_co_ci_u32_e64 v207, s0, v59, v67, s0
	v_lshlrev_b64 v[60:61], 4, v[61:62]
	v_mov_b32_e32 v62, v70
	v_mad_u64_u32 v[66:67], null, s2, v68, 0
	v_add_nc_u32_e32 v77, 0x3d4, v231
	v_mad_u64_u32 v[62:63], null, s3, v228, v[62:63]
	v_add_co_u32 v208, s0, v58, v60
	v_add_co_ci_u32_e64 v209, s0, v59, v61, s0
	v_lshlrev_b64 v[60:61], 4, v[73:74]
	v_lshlrev_b64 v[73:74], 4, v[75:76]
	v_mov_b32_e32 v63, v67
	v_mad_u64_u32 v[75:76], null, s2, v77, 0
	v_mov_b32_e32 v70, v62
	v_add_co_u32 v210, s0, v58, v60
	v_mad_u64_u32 v[62:63], null, s3, v68, v[63:64]
	v_add_co_ci_u32_e64 v211, s0, v59, v61, s0
	v_mov_b32_e32 v63, v76
	v_lshlrev_b64 v[60:61], 4, v[69:70]
	v_add_co_u32 v212, s0, v58, v73
	v_mov_b32_e32 v67, v62
	v_mad_u64_u32 v[62:63], null, s3, v77, v[63:64]
	v_add_nc_u32_e32 v70, 0x52b, v231
	v_add_nc_u32_e32 v77, 0x682, v231
	v_add_co_ci_u32_e64 v213, s0, v59, v74, s0
	v_add_co_u32 v214, s0, v58, v60
	v_add_co_ci_u32_e64 v215, s0, v59, v61, s0
	v_lshlrev_b64 v[60:61], 4, v[66:67]
	v_mov_b32_e32 v76, v62
	v_mad_u64_u32 v[62:63], null, s2, v70, 0
	v_mad_u64_u32 v[66:67], null, s2, v77, 0
	v_add_co_u32 v216, s0, v58, v60
	v_add_co_ci_u32_e64 v217, s0, v59, v61, s0
	v_mov_b32_e32 v60, v63
	v_mad_u64_u32 v[68:69], null, s2, v78, 0
	v_mov_b32_e32 v61, v67
	v_lshlrev_b64 v[73:74], 4, v[75:76]
	v_mad_u64_u32 v[75:76], null, s3, v70, v[60:61]
	v_add_nc_u32_e32 v70, 0x930, v231
	v_mad_u64_u32 v[60:61], null, s3, v77, v[61:62]
	v_mov_b32_e32 v61, v69
	v_add_co_u32 v218, s0, v58, v73
	v_mad_u64_u32 v[76:77], null, s2, v70, 0
	v_mov_b32_e32 v63, v75
	v_mov_b32_e32 v67, v60
	v_mad_u64_u32 v[60:61], null, s3, v78, v[61:62]
	v_add_co_ci_u32_e64 v219, s0, v59, v74, s0
	v_mov_b32_e32 v61, v77
	v_lshlrev_b64 v[2:3], 4, v[62:63]
	v_mov_b32_e32 v69, v60
	v_mad_u64_u32 v[4:5], null, s3, v70, v[61:62]
	v_lshlrev_b64 v[61:62], 4, v[66:67]
	v_add_co_u32 v220, s0, v58, v2
	v_add_co_ci_u32_e64 v221, s0, v59, v3, s0
	v_lshlrev_b64 v[2:3], 4, v[68:69]
	v_mov_b32_e32 v77, v4
	v_add_co_u32 v222, s0, v58, v61
	v_add_co_ci_u32_e64 v223, s0, v59, v62, s0
	v_lshlrev_b64 v[4:5], 4, v[76:77]
	v_add_co_u32 v224, s0, v58, v2
	v_add_co_ci_u32_e64 v225, s0, v59, v3, s0
	v_add_co_u32 v226, s0, v58, v4
	v_add_co_ci_u32_e64 v227, s0, v59, v5, s0
	s_clause 0x2e
	global_load_dwordx4 v[188:191], v[0:1], off
	global_load_dwordx4 v[180:183], v[6:7], off
	;; [unrolled: 1-line block ×47, first 2 shown]
.LBB0_13:
	s_or_b32 exec_lo, exec_lo, s1
	s_waitcnt vmcnt(42)
	v_add_f64 v[196:197], v[176:177], v[172:173]
	v_add_f64 v[198:199], v[178:179], v[174:175]
	;; [unrolled: 1-line block ×4, first 2 shown]
	v_add_f64 v[188:189], v[188:189], -v[192:193]
	v_add_f64 v[190:191], v[190:191], -v[194:195]
	v_add_f64 v[192:193], v[184:185], v[180:181]
	v_add_f64 v[194:195], v[186:187], v[182:183]
	v_add_f64 v[180:181], v[184:185], -v[180:181]
	v_add_f64 v[182:183], v[186:187], -v[182:183]
	;; [unrolled: 1-line block ×4, first 2 shown]
	s_mov_b32 s10, 0x37e14327
	s_mov_b32 s24, 0x36b3c0b5
	;; [unrolled: 1-line block ×8, first 2 shown]
	s_waitcnt vmcnt(35)
	v_add_f64 v[212:213], v[168:169], v[164:165]
	v_add_f64 v[168:169], v[164:165], -v[168:169]
	s_mov_b32 s14, 0xaaaaaaaa
	s_mov_b32 s6, 0x5476071b
	v_add_f64 v[176:177], v[200:201], v[196:197]
	v_add_f64 v[178:179], v[202:203], v[198:199]
	s_mov_b32 s18, 0xb247c609
	s_mov_b32 s15, 0xbff2aaaa
	v_add_f64 v[184:185], v[196:197], -v[192:193]
	v_add_f64 v[186:187], v[198:199], -v[194:195]
	;; [unrolled: 1-line block ×6, first 2 shown]
	v_add_f64 v[188:189], v[180:181], v[188:189]
	v_add_f64 v[190:191], v[182:183], v[190:191]
	v_add_f64 v[180:181], v[172:173], -v[180:181]
	v_add_f64 v[182:183], v[174:175], -v[182:183]
	s_mov_b32 s7, 0x3fe77f67
	s_mov_b32 s17, 0xbfe77f67
	;; [unrolled: 1-line block ×6, first 2 shown]
	v_add_f64 v[214:215], v[170:171], v[166:167]
	v_add_f64 v[166:167], v[166:167], -v[170:171]
	v_add_f64 v[176:177], v[192:193], v[176:177]
	v_add_f64 v[178:179], v[194:195], v[178:179]
	v_add_f64 v[192:193], v[192:193], -v[200:201]
	v_add_f64 v[194:195], v[194:195], -v[202:203]
	v_mul_f64 v[184:185], v[184:185], s[10:11]
	v_mul_f64 v[186:187], v[186:187], s[10:11]
	;; [unrolled: 1-line block ×6, first 2 shown]
	v_add_f64 v[170:171], v[156:157], v[152:153]
	v_add_f64 v[152:153], v[152:153], -v[156:157]
	v_add_f64 v[156:157], v[188:189], v[172:173]
	v_add_f64 v[172:173], v[190:191], v[174:175]
	s_mov_b32 s0, 0x37c3f68c
	s_mov_b32 s1, 0x3fdc38aa
	buffer_store_dword v236, off, s[28:31], 0 offset:128 ; 4-byte Folded Spill
	v_add_f64 v[164:165], v[160:161], v[176:177]
	v_add_f64 v[160:161], v[162:163], v[178:179]
	v_add_f64 v[162:163], v[200:201], -v[196:197]
	v_add_f64 v[196:197], v[202:203], -v[198:199]
	v_mul_f64 v[198:199], v[192:193], s[24:25]
	v_mul_f64 v[200:201], v[194:195], s[24:25]
	v_add_f64 v[202:203], v[158:159], v[154:155]
	v_fma_f64 v[174:175], v[192:193], s[24:25], v[184:185]
	v_fma_f64 v[188:189], v[194:195], s[24:25], v[186:187]
	;; [unrolled: 1-line block ×4, first 2 shown]
	v_fma_f64 v[194:195], v[208:209], s[4:5], -v[204:205]
	v_fma_f64 v[204:205], v[210:211], s[4:5], -v[206:207]
	;; [unrolled: 1-line block ×4, first 2 shown]
	v_add_f64 v[154:155], v[154:155], -v[158:159]
	v_add_f64 v[158:159], v[148:149], v[144:145]
	v_add_f64 v[206:207], v[150:151], -v[146:147]
	s_waitcnt vmcnt(28)
	v_add_f64 v[208:209], v[120:121], v[116:117]
	v_add_f64 v[210:211], v[122:123], v[118:119]
	;; [unrolled: 1-line block ×3, first 2 shown]
	v_add_f64 v[242:243], v[152:153], -v[168:169]
	v_fma_f64 v[176:177], v[176:177], s[14:15], v[164:165]
	v_fma_f64 v[178:179], v[178:179], s[14:15], v[160:161]
	v_fma_f64 v[184:185], v[162:163], s[16:17], -v[184:185]
	v_fma_f64 v[186:187], v[196:197], s[16:17], -v[186:187]
	;; [unrolled: 1-line block ×4, first 2 shown]
	v_add_f64 v[198:199], v[150:151], v[146:147]
	v_add_f64 v[200:201], v[148:149], -v[144:145]
	v_add_f64 v[144:145], v[170:171], v[212:213]
	v_add_f64 v[146:147], v[202:203], v[214:215]
	v_fma_f64 v[218:219], v[156:157], s[0:1], v[190:191]
	v_fma_f64 v[192:193], v[172:173], s[0:1], v[192:193]
	;; [unrolled: 1-line block ×6, first 2 shown]
	v_add_f64 v[220:221], v[202:203], -v[214:215]
	v_add_f64 v[204:205], v[170:171], -v[212:213]
	;; [unrolled: 1-line block ×4, first 2 shown]
	v_add_f64 v[226:227], v[206:207], v[154:155]
	v_add_f64 v[240:241], v[206:207], -v[154:155]
	v_add_f64 v[174:175], v[174:175], v[176:177]
	v_add_f64 v[180:181], v[188:189], v[178:179]
	;; [unrolled: 1-line block ×7, first 2 shown]
	v_add_f64 v[214:215], v[214:215], -v[198:199]
	v_add_f64 v[196:197], v[128:129], v[124:125]
	v_add_f64 v[222:223], v[198:199], -v[202:203]
	v_add_f64 v[224:225], v[200:201], v[152:153]
	;; [unrolled: 2-line block ×3, first 2 shown]
	v_add_f64 v[234:235], v[198:199], v[146:147]
	v_add_f64 v[244:245], v[154:155], -v[166:167]
	v_add_f64 v[132:133], v[132:133], -v[136:137]
	;; [unrolled: 1-line block ×6, first 2 shown]
	v_add_f64 v[128:129], v[226:227], v[166:167]
	v_mul_f64 v[136:137], v[242:243], s[4:5]
	v_add_f64 v[202:203], v[192:193], v[174:175]
	v_add_f64 v[188:189], v[174:175], -v[192:193]
	v_add_f64 v[190:191], v[172:173], v[182:183]
	v_add_f64 v[154:155], v[180:181], -v[218:219]
	v_add_f64 v[198:199], v[162:163], -v[194:195]
	v_add_f64 v[186:187], v[194:195], v[162:163]
	v_add_f64 v[194:195], v[182:183], -v[172:173]
	v_add_f64 v[162:163], v[130:131], v[126:127]
	v_add_f64 v[172:173], v[216:217], v[208:209]
	;; [unrolled: 1-line block ×3, first 2 shown]
	v_mul_f64 v[182:183], v[214:215], s[10:11]
	v_add_f64 v[126:127], v[130:131], -v[126:127]
	v_add_f64 v[150:151], v[184:185], -v[156:157]
	v_add_f64 v[152:153], v[148:149], v[176:177]
	v_add_f64 v[144:145], v[176:177], -v[148:149]
	v_add_f64 v[148:149], v[156:157], v[184:185]
	v_add_f64 v[146:147], v[218:219], v[180:181]
	v_add_f64 v[176:177], v[168:169], -v[200:201]
	v_add_f64 v[180:181], v[166:167], -v[206:207]
	v_add_f64 v[156:157], v[140:141], v[158:159]
	v_add_f64 v[140:141], v[142:143], v[234:235]
	v_mul_f64 v[142:143], v[212:213], s[10:11]
	v_mul_f64 v[184:185], v[170:171], s[24:25]
	;; [unrolled: 1-line block ×3, first 2 shown]
	v_add_f64 v[122:123], v[224:225], v[168:169]
	v_mul_f64 v[116:117], v[232:233], s[22:23]
	v_mul_f64 v[130:131], v[240:241], s[22:23]
	v_mul_f64 v[138:139], v[244:245], s[4:5]
	v_add_f64 v[214:215], v[124:125], -v[132:133]
	v_add_f64 v[218:219], v[134:135], -v[118:119]
	v_add_f64 v[166:167], v[196:197], v[172:173]
	v_add_f64 v[168:169], v[162:163], v[174:175]
	v_add_f64 v[172:173], v[208:209], -v[196:197]
	v_add_f64 v[174:175], v[210:211], -v[162:163]
	v_fma_f64 v[206:207], v[222:223], s[24:25], v[182:183]
	v_add_f64 v[196:197], v[196:197], -v[216:217]
	v_add_f64 v[162:163], v[162:163], -v[178:179]
	;; [unrolled: 1-line block ×4, first 2 shown]
	v_fma_f64 v[182:183], v[220:221], s[16:17], -v[182:183]
	v_add_f64 v[178:179], v[178:179], -v[210:211]
	v_fma_f64 v[158:159], v[158:159], s[14:15], v[156:157]
	v_fma_f64 v[200:201], v[234:235], s[14:15], v[140:141]
	;; [unrolled: 1-line block ×3, first 2 shown]
	v_fma_f64 v[184:185], v[204:205], s[6:7], -v[184:185]
	v_fma_f64 v[192:193], v[220:221], s[6:7], -v[192:193]
	;; [unrolled: 1-line block ×3, first 2 shown]
	v_fma_f64 v[204:205], v[176:177], s[18:19], v[116:117]
	v_fma_f64 v[220:221], v[180:181], s[18:19], v[130:131]
	v_fma_f64 v[224:225], v[242:243], s[4:5], -v[116:117]
	v_fma_f64 v[130:131], v[244:245], s[4:5], -v[130:131]
	v_add_f64 v[132:133], v[124:125], v[132:133]
	v_add_f64 v[116:117], v[112:113], v[166:167]
	;; [unrolled: 1-line block ×3, first 2 shown]
	v_mul_f64 v[114:115], v[172:173], s[10:11]
	v_mul_f64 v[172:173], v[174:175], s[10:11]
	v_add_f64 v[174:175], v[216:217], -v[208:209]
	v_add_f64 v[134:135], v[126:127], v[134:135]
	v_mul_f64 v[208:209], v[196:197], s[24:25]
	v_mul_f64 v[210:211], v[162:163], s[24:25]
	v_add_f64 v[124:125], v[120:121], -v[124:125]
	v_add_f64 v[126:127], v[118:119], -v[126:127]
	v_mul_f64 v[212:213], v[212:213], s[22:23]
	v_mul_f64 v[214:215], v[214:215], s[22:23]
	;; [unrolled: 1-line block ×4, first 2 shown]
	v_fma_f64 v[136:137], v[176:177], s[20:21], -v[136:137]
	v_fma_f64 v[138:139], v[180:181], s[20:21], -v[138:139]
	v_add_f64 v[170:171], v[170:171], v[158:159]
	v_add_f64 v[176:177], v[206:207], v[200:201]
	v_add_f64 v[180:181], v[184:185], v[158:159]
	v_add_f64 v[184:185], v[192:193], v[200:201]
	v_add_f64 v[142:143], v[142:143], v[158:159]
	v_add_f64 v[182:183], v[182:183], v[200:201]
	v_fma_f64 v[166:167], v[166:167], s[14:15], v[116:117]
	v_fma_f64 v[168:169], v[168:169], s[14:15], v[112:113]
	;; [unrolled: 1-line block ×4, first 2 shown]
	v_add_f64 v[120:121], v[132:133], v[120:121]
	v_add_f64 v[118:119], v[134:135], v[118:119]
	v_fma_f64 v[132:133], v[174:175], s[6:7], -v[208:209]
	v_fma_f64 v[134:135], v[178:179], s[6:7], -v[210:211]
	;; [unrolled: 1-line block ×4, first 2 shown]
	v_fma_f64 v[172:173], v[126:127], s[18:19], v[212:213]
	v_fma_f64 v[174:175], v[124:125], s[18:19], v[214:215]
	v_fma_f64 v[126:127], v[126:127], s[20:21], -v[216:217]
	v_fma_f64 v[124:125], v[124:125], s[20:21], -v[226:227]
	;; [unrolled: 1-line block ×4, first 2 shown]
	v_fma_f64 v[200:201], v[128:129], s[0:1], v[220:221]
	v_fma_f64 v[204:205], v[122:123], s[0:1], v[204:205]
	;; [unrolled: 1-line block ×6, first 2 shown]
	s_waitcnt vmcnt(21)
	v_add_f64 v[208:209], v[92:93], v[88:89]
	v_add_f64 v[210:211], v[94:95], v[90:91]
	;; [unrolled: 1-line block ×10, first 2 shown]
	v_fma_f64 v[172:173], v[118:119], s[0:1], v[172:173]
	v_fma_f64 v[174:175], v[120:121], s[0:1], v[174:175]
	v_fma_f64 v[234:235], v[118:119], s[0:1], v[126:127]
	v_fma_f64 v[240:241], v[120:121], s[0:1], v[124:125]
	v_fma_f64 v[178:179], v[118:119], s[0:1], v[178:179]
	v_fma_f64 v[196:197], v[120:121], s[0:1], v[196:197]
	v_add_f64 v[104:105], v[104:105], -v[108:109]
	v_add_f64 v[106:107], v[106:107], -v[110:111]
	;; [unrolled: 1-line block ×5, first 2 shown]
	v_add_f64 v[138:139], v[122:123], v[184:185]
	v_add_f64 v[128:129], v[128:129], v[180:181]
	v_add_f64 v[132:133], v[184:185], -v[122:123]
	v_add_f64 v[180:181], v[100:101], v[96:97]
	v_add_f64 v[184:185], v[102:103], v[98:99]
	;; [unrolled: 1-line block ×4, first 2 shown]
	v_add_f64 v[100:101], v[100:101], -v[96:97]
	v_add_f64 v[98:99], v[102:103], -v[98:99]
	v_add_f64 v[222:223], v[200:201], v[170:171]
	v_add_f64 v[158:159], v[176:177], -v[204:205]
	v_add_f64 v[212:213], v[206:207], v[142:143]
	v_add_f64 v[134:135], v[182:183], -v[136:137]
	v_add_f64 v[218:219], v[142:143], -v[206:207]
	v_add_f64 v[142:143], v[136:137], v[182:183]
	v_add_f64 v[216:217], v[170:171], -v[200:201]
	v_add_f64 v[136:137], v[204:205], v[176:177]
	v_add_f64 v[120:121], v[172:173], v[192:193]
	v_add_f64 v[130:131], v[162:163], -v[174:175]
	v_add_f64 v[114:115], v[234:235], v[166:167]
	v_add_f64 v[124:125], v[168:169], -v[240:241]
	v_add_f64 v[118:119], v[220:221], -v[178:179]
	v_add_f64 v[126:127], v[196:197], v[226:227]
	v_add_f64 v[122:123], v[178:179], v[220:221]
	v_add_f64 v[96:97], v[226:227], -v[196:197]
	v_add_f64 v[220:221], v[166:167], -v[234:235]
	v_add_f64 v[88:89], v[240:241], v[168:169]
	v_add_f64 v[102:103], v[180:181], v[242:243]
	;; [unrolled: 1-line block ×3, first 2 shown]
	v_add_f64 v[110:111], v[208:209], -v[180:181]
	v_add_f64 v[166:167], v[210:211], -v[184:185]
	;; [unrolled: 1-line block ×4, first 2 shown]
	s_waitcnt vmcnt(14)
	v_add_f64 v[176:177], v[64:65], v[60:61]
	v_add_f64 v[178:179], v[66:67], v[62:63]
	;; [unrolled: 1-line block ×4, first 2 shown]
	v_add_f64 v[226:227], v[192:193], -v[172:173]
	v_add_f64 v[90:91], v[174:175], v[162:163]
	v_add_f64 v[174:175], v[100:101], -v[104:105]
	v_add_f64 v[184:185], v[98:99], -v[106:107]
	v_add_f64 v[192:193], v[100:101], v[104:105]
	v_add_f64 v[196:197], v[98:99], v[106:107]
	v_add_f64 v[104:105], v[104:105], -v[92:93]
	v_add_f64 v[106:107], v[106:107], -v[94:95]
	;; [unrolled: 1-line block ×6, first 2 shown]
	v_add_f64 v[224:225], v[84:85], v[102:103]
	v_add_f64 v[84:85], v[86:87], v[108:109]
	v_mul_f64 v[86:87], v[110:111], s[10:11]
	v_mul_f64 v[110:111], v[166:167], s[10:11]
	v_add_f64 v[204:205], v[72:73], v[68:69]
	v_mul_f64 v[200:201], v[170:171], s[24:25]
	v_add_f64 v[206:207], v[74:75], v[70:71]
	v_add_f64 v[76:77], v[76:77], -v[80:81]
	v_add_f64 v[208:209], v[180:181], v[176:177]
	v_add_f64 v[210:211], v[182:183], v[178:179]
	v_add_f64 v[78:79], v[78:79], -v[82:83]
	v_add_f64 v[70:71], v[74:75], -v[70:71]
	v_add_f64 v[68:69], v[72:73], -v[68:69]
	v_mul_f64 v[72:73], v[174:175], s[22:23]
	v_mul_f64 v[74:75], v[184:185], s[22:23]
	v_add_f64 v[62:63], v[62:63], -v[66:67]
	v_add_f64 v[60:61], v[60:61], -v[64:65]
	v_mul_f64 v[64:65], v[104:105], s[4:5]
	v_mul_f64 v[66:67], v[106:107], s[4:5]
	;; [unrolled: 1-line block ×3, first 2 shown]
	v_add_f64 v[80:81], v[192:193], v[92:93]
	v_add_f64 v[82:83], v[196:197], v[94:95]
	v_fma_f64 v[92:93], v[102:103], s[14:15], v[224:225]
	v_fma_f64 v[94:95], v[108:109], s[14:15], v[84:85]
	;; [unrolled: 1-line block ×4, first 2 shown]
	v_fma_f64 v[110:111], v[172:173], s[16:17], -v[110:111]
	v_fma_f64 v[168:169], v[172:173], s[6:7], -v[200:201]
	v_add_f64 v[174:175], v[176:177], -v[204:205]
	v_add_f64 v[184:185], v[178:179], -v[206:207]
	v_add_f64 v[170:171], v[204:205], v[208:209]
	v_add_f64 v[172:173], v[206:207], v[210:211]
	v_add_f64 v[176:177], v[180:181], -v[176:177]
	v_add_f64 v[192:193], v[70:71], -v[78:79]
	;; [unrolled: 1-line block ×3, first 2 shown]
	v_fma_f64 v[200:201], v[100:101], s[18:19], v[72:73]
	v_fma_f64 v[208:209], v[98:99], s[18:19], v[74:75]
	v_fma_f64 v[72:73], v[104:105], s[4:5], -v[72:73]
	v_fma_f64 v[74:75], v[106:107], s[4:5], -v[74:75]
	v_add_f64 v[104:105], v[78:79], -v[62:63]
	v_add_f64 v[106:107], v[76:77], -v[60:61]
	v_fma_f64 v[64:65], v[100:101], s[20:21], -v[64:65]
	v_fma_f64 v[66:67], v[98:99], s[20:21], -v[66:67]
	v_add_f64 v[98:99], v[204:205], -v[180:181]
	v_add_f64 v[100:101], v[206:207], -v[182:183]
	v_fma_f64 v[166:167], v[162:163], s[6:7], -v[166:167]
	v_fma_f64 v[162:163], v[162:163], s[16:17], -v[86:87]
	v_add_f64 v[204:205], v[102:103], v[92:93]
	v_add_f64 v[76:77], v[68:69], v[76:77]
	;; [unrolled: 1-line block ×3, first 2 shown]
	v_add_f64 v[68:69], v[60:61], -v[68:69]
	v_add_f64 v[70:71], v[62:63], -v[70:71]
	v_add_f64 v[56:57], v[56:57], v[170:171]
	v_add_f64 v[86:87], v[58:59], v[172:173]
	v_mul_f64 v[58:59], v[174:175], s[10:11]
	v_mul_f64 v[102:103], v[184:185], s[10:11]
	;; [unrolled: 1-line block ×4, first 2 shown]
	v_add_f64 v[178:179], v[182:183], -v[178:179]
	v_fma_f64 v[196:197], v[80:81], s[0:1], v[200:201]
	v_add_f64 v[108:109], v[108:109], v[94:95]
	v_mul_f64 v[180:181], v[104:105], s[4:5]
	v_mul_f64 v[182:183], v[106:107], s[4:5]
	v_add_f64 v[168:169], v[168:169], v[94:95]
	v_fma_f64 v[192:193], v[82:83], s[0:1], v[208:209]
	v_mul_f64 v[200:201], v[98:99], s[24:25]
	v_mul_f64 v[206:207], v[100:101], s[24:25]
	v_add_f64 v[166:167], v[166:167], v[92:93]
	v_add_f64 v[162:163], v[162:163], v[92:93]
	v_add_f64 v[94:95], v[110:111], v[94:95]
	v_fma_f64 v[110:111], v[80:81], s[0:1], v[64:65]
	v_fma_f64 v[208:209], v[82:83], s[0:1], v[66:67]
	v_add_f64 v[60:61], v[76:77], v[60:61]
	v_add_f64 v[76:77], v[78:79], v[62:63]
	v_fma_f64 v[78:79], v[170:171], s[14:15], v[56:57]
	v_fma_f64 v[170:171], v[172:173], s[14:15], v[86:87]
	;; [unrolled: 1-line block ×8, first 2 shown]
	v_fma_f64 v[80:81], v[176:177], s[16:17], -v[58:59]
	v_fma_f64 v[82:83], v[178:179], s[16:17], -v[102:103]
	;; [unrolled: 1-line block ×8, first 2 shown]
	s_waitcnt vmcnt(7)
	v_add_f64 v[174:175], v[36:37], v[32:33]
	v_add_f64 v[180:181], v[38:39], v[34:35]
	;; [unrolled: 1-line block ×5, first 2 shown]
	v_add_f64 v[48:49], v[48:49], -v[52:53]
	v_add_f64 v[50:51], v[50:51], -v[54:55]
	s_waitcnt vmcnt(0)
	v_add_f64 v[52:53], v[10:11], v[6:7]
	v_add_f64 v[200:201], v[64:65], v[78:79]
	;; [unrolled: 1-line block ×3, first 2 shown]
	v_fma_f64 v[232:233], v[76:77], s[0:1], v[100:101]
	v_add_f64 v[54:55], v[24:25], v[20:21]
	v_add_f64 v[64:65], v[166:167], -v[74:75]
	v_add_f64 v[102:103], v[72:73], v[168:169]
	v_add_f64 v[80:81], v[80:81], v[78:79]
	;; [unrolled: 1-line block ×3, first 2 shown]
	v_fma_f64 v[206:207], v[76:77], s[0:1], v[70:71]
	v_add_f64 v[66:67], v[74:75], v[166:167]
	v_add_f64 v[100:101], v[168:169], -v[72:73]
	v_add_f64 v[72:73], v[176:177], v[78:79]
	v_add_f64 v[74:75], v[178:179], v[170:171]
	v_fma_f64 v[78:79], v[60:61], s[0:1], v[106:107]
	v_fma_f64 v[76:77], v[76:77], s[0:1], v[104:105]
	v_add_f64 v[170:171], v[44:45], v[40:41]
	v_add_f64 v[176:177], v[46:47], v[42:43]
	;; [unrolled: 1-line block ×4, first 2 shown]
	v_add_f64 v[70:71], v[162:163], -v[208:209]
	v_add_f64 v[44:45], v[44:45], -v[40:41]
	;; [unrolled: 1-line block ×3, first 2 shown]
	v_add_f64 v[46:47], v[8:9], v[4:5]
	v_add_f64 v[162:163], v[26:27], v[22:23]
	v_add_f64 v[58:59], v[192:193], v[204:205]
	v_add_f64 v[92:93], v[108:109], -v[196:197]
	v_fma_f64 v[234:235], v[60:61], s[0:1], v[68:69]
	v_add_f64 v[68:69], v[204:205], -v[192:193]
	v_add_f64 v[104:105], v[196:197], v[108:109]
	v_add_f64 v[36:37], v[32:33], -v[36:37]
	v_add_f64 v[38:39], v[34:35], -v[38:39]
	v_add_f64 v[196:197], v[16:17], v[12:13]
	v_add_f64 v[204:205], v[18:19], v[14:15]
	v_add_f64 v[22:23], v[22:23], -v[26:27]
	v_add_f64 v[14:15], v[18:19], -v[14:15]
	v_add_f64 v[168:169], v[78:79], v[74:75]
	v_add_f64 v[34:35], v[72:73], -v[76:77]
	v_add_f64 v[32:33], v[76:77], v[72:73]
	;; [unrolled: 2-line block ×3, first 2 shown]
	v_add_f64 v[178:179], v[176:177], v[178:179]
	v_add_f64 v[166:167], v[74:75], -v[78:79]
	v_add_f64 v[74:75], v[184:185], -v[180:181]
	;; [unrolled: 1-line block ×6, first 2 shown]
	v_add_f64 v[176:177], v[44:45], v[48:49]
	v_add_f64 v[180:181], v[42:43], v[50:51]
	v_add_f64 v[182:183], v[44:45], -v[48:49]
	v_add_f64 v[184:185], v[42:43], -v[50:51]
	v_add_f64 v[208:209], v[54:55], v[46:47]
	v_add_f64 v[240:241], v[162:163], v[52:53]
	v_add_f64 v[6:7], v[6:7], -v[10:11]
	v_add_f64 v[20:21], v[20:21], -v[24:25]
	;; [unrolled: 1-line block ×4, first 2 shown]
	v_add_f64 v[106:107], v[110:111], v[94:95]
	v_add_f64 v[48:49], v[48:49], -v[36:37]
	v_add_f64 v[50:51], v[50:51], -v[38:39]
	;; [unrolled: 1-line block ×4, first 2 shown]
	v_add_f64 v[110:111], v[30:31], v[178:179]
	v_add_f64 v[28:29], v[28:29], v[192:193]
	v_add_f64 v[42:43], v[38:39], -v[42:43]
	v_mul_f64 v[8:9], v[76:77], s[10:11]
	v_mul_f64 v[10:11], v[78:79], s[10:11]
	;; [unrolled: 1-line block ×4, first 2 shown]
	v_add_f64 v[24:25], v[176:177], v[36:37]
	v_add_f64 v[26:27], v[180:181], v[38:39]
	v_mul_f64 v[30:31], v[182:183], s[22:23]
	v_mul_f64 v[36:37], v[184:185], s[22:23]
	v_add_f64 v[78:79], v[196:197], v[208:209]
	v_add_f64 v[176:177], v[204:205], v[240:241]
	v_add_f64 v[180:181], v[46:47], -v[196:197]
	v_add_f64 v[182:183], v[52:53], -v[204:205]
	;; [unrolled: 1-line block ×7, first 2 shown]
	v_mul_f64 v[38:39], v[48:49], s[4:5]
	v_mul_f64 v[76:77], v[50:51], s[4:5]
	v_add_f64 v[242:243], v[20:21], -v[4:5]
	v_add_f64 v[46:47], v[54:55], -v[46:47]
	;; [unrolled: 1-line block ×3, first 2 shown]
	v_fma_f64 v[170:171], v[170:171], s[24:25], v[8:9]
	v_fma_f64 v[174:175], v[174:175], s[24:25], v[10:11]
	v_fma_f64 v[16:17], v[72:73], s[6:7], -v[16:17]
	v_fma_f64 v[18:19], v[74:75], s[6:7], -v[18:19]
	;; [unrolled: 1-line block ×4, first 2 shown]
	v_add_f64 v[20:21], v[12:13], v[20:21]
	v_add_f64 v[22:23], v[14:15], v[22:23]
	v_add_f64 v[0:1], v[0:1], v[78:79]
	v_add_f64 v[162:163], v[2:3], v[176:177]
	v_mul_f64 v[2:3], v[180:181], s[10:11]
	v_mul_f64 v[54:55], v[182:183], s[10:11]
	;; [unrolled: 1-line block ×4, first 2 shown]
	v_add_f64 v[14:15], v[6:7], -v[14:15]
	v_mul_f64 v[180:181], v[204:205], s[22:23]
	v_mul_f64 v[204:205], v[240:241], s[4:5]
	v_fma_f64 v[192:193], v[192:193], s[14:15], v[28:29]
	v_mul_f64 v[182:183], v[208:209], s[22:23]
	v_fma_f64 v[178:179], v[178:179], s[14:15], v[110:111]
	v_add_f64 v[12:13], v[4:5], -v[12:13]
	v_fma_f64 v[246:247], v[42:43], s[18:19], v[36:37]
	v_fma_f64 v[36:37], v[50:51], s[4:5], -v[36:37]
	v_fma_f64 v[38:39], v[44:45], s[20:21], -v[38:39]
	;; [unrolled: 1-line block ×3, first 2 shown]
	v_mul_f64 v[208:209], v[242:243], s[4:5]
	v_fma_f64 v[244:245], v[44:45], s[18:19], v[30:31]
	v_fma_f64 v[30:31], v[48:49], s[4:5], -v[30:31]
	v_add_f64 v[4:5], v[20:21], v[4:5]
	v_add_f64 v[6:7], v[22:23], v[6:7]
	v_fma_f64 v[20:21], v[78:79], s[14:15], v[0:1]
	v_fma_f64 v[22:23], v[176:177], s[14:15], v[162:163]
	;; [unrolled: 1-line block ×3, first 2 shown]
	v_fma_f64 v[2:3], v[46:47], s[16:17], -v[2:3]
	v_fma_f64 v[72:73], v[46:47], s[6:7], -v[72:73]
	;; [unrolled: 1-line block ×4, first 2 shown]
	v_fma_f64 v[52:53], v[14:15], s[18:19], v[180:181]
	v_fma_f64 v[14:15], v[14:15], s[20:21], -v[204:205]
	v_fma_f64 v[78:79], v[240:241], s[4:5], -v[180:181]
	v_add_f64 v[44:45], v[170:171], v[192:193]
	v_fma_f64 v[170:171], v[242:243], s[4:5], -v[182:183]
	v_add_f64 v[48:49], v[174:175], v[178:179]
	v_add_f64 v[174:175], v[16:17], v[192:193]
	;; [unrolled: 1-line block ×4, first 2 shown]
	v_fma_f64 v[42:43], v[26:27], s[0:1], v[42:43]
	v_fma_f64 v[38:39], v[24:25], s[0:1], v[38:39]
	;; [unrolled: 1-line block ×5, first 2 shown]
	v_fma_f64 v[12:13], v[12:13], s[20:21], -v[208:209]
	v_add_f64 v[18:19], v[18:19], v[178:179]
	v_fma_f64 v[30:31], v[24:25], s[0:1], v[30:31]
	v_add_f64 v[50:51], v[50:51], v[20:21]
	v_add_f64 v[196:197], v[2:3], v[20:21]
	;; [unrolled: 1-line block ×3, first 2 shown]
	v_fma_f64 v[176:177], v[26:27], s[0:1], v[246:247]
	v_add_f64 v[74:75], v[74:75], v[22:23]
	v_fma_f64 v[52:53], v[6:7], s[0:1], v[52:53]
	v_fma_f64 v[208:209], v[6:7], s[0:1], v[14:15]
	;; [unrolled: 1-line block ×5, first 2 shown]
	v_add_f64 v[60:61], v[232:233], v[200:201]
	v_add_f64 v[40:41], v[206:207], v[80:81]
	v_add_f64 v[26:27], v[80:81], -v[206:207]
	v_fma_f64 v[180:181], v[24:25], s[0:1], v[244:245]
	v_add_f64 v[16:17], v[42:43], v[8:9]
	v_add_f64 v[184:185], v[10:11], -v[38:39]
	v_add_f64 v[20:21], v[174:175], -v[36:37]
	v_add_f64 v[182:183], v[38:39], v[10:11]
	v_fma_f64 v[54:55], v[4:5], s[0:1], v[54:55]
	v_fma_f64 v[240:241], v[4:5], s[0:1], v[12:13]
	v_add_f64 v[12:13], v[36:37], v[174:175]
	v_add_f64 v[192:193], v[30:31], v[18:19]
	v_add_f64 v[178:179], v[18:19], -v[30:31]
	v_add_f64 v[18:19], v[8:9], -v[42:43]
	;; [unrolled: 1-line block ×4, first 2 shown]
	v_add_f64 v[76:77], v[76:77], v[22:23]
	v_add_f64 v[10:11], v[52:53], v[50:51]
	;; [unrolled: 1-line block ×3, first 2 shown]
	v_add_f64 v[8:9], v[72:73], -v[2:3]
	v_add_f64 v[2:3], v[2:3], v[72:73]
	v_add_f64 v[174:175], v[6:7], v[74:75]
	v_add_f64 v[170:171], v[74:75], -v[6:7]
	v_add_f64 v[6:7], v[196:197], -v[208:209]
	v_mad_u32_u24 v197, v231, 56, 0
	v_add_f64 v[30:31], v[50:51], -v[52:53]
	v_add_f64 v[46:47], v[46:47], v[22:23]
	v_add_f64 v[22:23], v[176:177], v[44:45]
	v_mad_i32_i24 v196, v236, 56, 0
	ds_write2_b64 v197, v[164:165], v[202:203] offset1:1
	ds_write2_b64 v197, v[190:191], v[198:199] offset0:2 offset1:3
	ds_write2_b64 v197, v[186:187], v[194:195] offset0:4 offset1:5
	ds_write_b64 v197, v[188:189] offset:48
	ds_write2_b64 v196, v[156:157], v[222:223] offset1:1
	v_mad_i32_i24 v186, v252, 56, 0
	v_mad_i32_i24 v164, v230, 56, 0
	ds_write2_b64 v196, v[212:213], v[214:215] offset0:2 offset1:3
	ds_write2_b64 v196, v[128:129], v[218:219] offset0:4 offset1:5
	ds_write_b64 v196, v[216:217] offset:48
	ds_write2_b64 v186, v[116:117], v[120:121] offset1:1
	ds_write2_b64 v186, v[114:115], v[118:119] offset0:2 offset1:3
	ds_write2_b64 v186, v[122:123], v[220:221] offset0:4 offset1:5
	ds_write_b64 v186, v[226:227] offset:48
	ds_write2_b64 v164, v[224:225], v[58:59] offset1:1
	v_mov_b32_e32 v116, v231
	v_mad_i32_i24 v187, v248, 56, 0
	v_mad_i32_i24 v165, v249, 56, 0
	;; [unrolled: 1-line block ×3, first 2 shown]
	ds_write2_b64 v164, v[62:63], v[64:65] offset0:2 offset1:3
	ds_write2_b64 v164, v[66:67], v[70:71] offset0:4 offset1:5
	ds_write_b64 v164, v[68:69] offset:48
	v_lshl_add_u32 v231, v116, 3, 0
	ds_write2_b64 v187, v[56:57], v[60:61] offset1:1
	ds_write2_b64 v187, v[40:41], v[34:35] offset0:2 offset1:3
	ds_write2_b64 v187, v[32:33], v[26:27] offset0:4 offset1:5
	ds_write_b64 v187, v[24:25] offset:48
	ds_write2_b64 v165, v[28:29], v[22:23] offset1:1
	ds_write2_b64 v165, v[16:17], v[20:21] offset0:2 offset1:3
	ds_write2_b64 v165, v[12:13], v[18:19] offset0:4 offset1:5
	ds_write_b64 v165, v[14:15] offset:48
	ds_write2_b64 v190, v[0:1], v[10:11] offset1:1
	ds_write2_b64 v190, v[4:5], v[8:9] offset0:2 offset1:3
	ds_write2_b64 v190, v[2:3], v[6:7] offset0:4 offset1:5
	ds_write_b64 v190, v[30:31] offset:48
	v_add_nc_u32_e32 v237, 0x800, v231
	v_add_nc_u32_e32 v229, 0x1000, v231
	;; [unrolled: 1-line block ×7, first 2 shown]
	v_add_f64 v[108:109], v[82:83], -v[234:235]
	v_add_f64 v[206:207], v[234:235], v[82:83]
	v_add_f64 v[176:177], v[76:77], -v[54:55]
	v_add_f64 v[208:209], v[54:55], v[76:77]
	s_waitcnt lgkmcnt(0)
	s_waitcnt_vscnt null, 0x0
	s_barrier
	buffer_gl0_inv
	ds_read2_b64 v[68:71], v237 offset0:87 offset1:136
	ds_read2_b64 v[16:19], v229 offset0:125 offset1:174
	ds_read2_b64 v[80:83], v214 offset0:5 offset1:54
	ds_read2_b64 v[8:11], v244 offset0:43 offset1:92
	ds_read2_b64 v[76:79], v0 offset0:179 offset1:228
	v_mov_b32_e32 v119, v0
	ds_read2_b64 v[0:3], v4 offset0:89 offset1:138
	v_mov_b32_e32 v212, v4
	v_lshl_add_u32 v4, v236, 3, 0
	v_add_nc_u32_e32 v118, 0x4400, v231
	v_mov_b32_e32 v194, v5
	v_add_nc_u32_e32 v6, 0x4000, v231
	v_lshl_add_u32 v117, v252, 3, 0
	v_mov_b32_e32 v239, v4
	v_lshl_add_u32 v217, v230, 3, 0
	v_add_nc_u32_e32 v251, 0x2c00, v231
	v_lshl_add_u32 v114, v248, 3, 0
	v_add_nc_u32_e32 v7, 0x3800, v231
	v_add_nc_u32_e32 v250, 0x1800, v231
	v_lshl_add_u32 v115, v249, 3, 0
	v_mad_i32_i24 v189, 0xffffffd0, v228, v190
	v_mov_b32_e32 v213, v118
	buffer_store_dword v212, off, s[28:31], 0 offset:92 ; 4-byte Folded Spill
	buffer_store_dword v194, off, s[28:31], 0 offset:4 ; 4-byte Folded Spill
	v_add_f64 v[200:201], v[48:49], -v[180:181]
	v_add_f64 v[180:181], v[180:181], v[48:49]
	ds_read2_b64 v[72:75], v5 offset0:95 offset1:144
	ds_read2_b64 v[60:63], v244 offset0:141 offset1:190
	;; [unrolled: 1-line block ×6, first 2 shown]
	ds_read_b64 v[122:123], v231
	ds_read_b64 v[120:121], v4
	buffer_store_dword v239, off, s[28:31], 0 offset:20 ; 4-byte Folded Spill
	buffer_store_dword v117, off, s[28:31], 0 offset:24 ; 4-byte Folded Spill
	v_add_f64 v[94:95], v[210:211], -v[172:173]
	v_add_f64 v[204:205], v[172:173], v[210:211]
	v_add_f64 v[172:173], v[46:47], -v[240:241]
	v_add_f64 v[210:211], v[240:241], v[46:47]
	ds_read_b64 v[128:129], v117
	ds_read_b64 v[215:216], v217
	ds_read2_b64 v[44:47], v250 offset0:65 offset1:114
	ds_read2_b64 v[40:43], v251 offset0:111 offset1:160
	buffer_store_dword v251, off, s[28:31], 0 offset:8 ; 4-byte Folded Spill
	buffer_store_dword v114, off, s[28:31], 0 offset:28 ; 4-byte Folded Spill
	ds_read2_b64 v[36:39], v6 offset0:157 offset1:206
	ds_read2_b64 v[32:35], v229 offset0:27 offset1:76
	;; [unrolled: 1-line block ×4, first 2 shown]
	buffer_store_dword v115, off, s[28:31], 0 ; 4-byte Folded Spill
	ds_read2_b64 v[20:23], v250 offset0:163 offset1:212
	ds_read2_b64 v[12:15], v119 offset0:81 offset1:130
	buffer_store_dword v189, off, s[28:31], 0 offset:12 ; 4-byte Folded Spill
	buffer_store_dword v213, off, s[28:31], 0 offset:88 ; 4-byte Folded Spill
	v_mov_b32_e32 v195, v6
	v_mov_b32_e32 v198, v7
	;; [unrolled: 1-line block ×3, first 2 shown]
	ds_read2_b64 v[4:7], v118 offset0:127 offset1:176
	ds_read_b64 v[156:157], v114
	ds_read_b64 v[118:119], v115
	;; [unrolled: 1-line block ×3, first 2 shown]
	v_and_b32_e32 v188, 0xff, v116
	v_and_b32_e32 v189, 0xff, v236
	s_waitcnt lgkmcnt(0)
	buffer_store_dword v114, off, s[28:31], 0 offset:100 ; 4-byte Folded Spill
	buffer_store_dword v115, off, s[28:31], 0 offset:104 ; 4-byte Folded Spill
	v_mul_lo_u16 v188, v188, 37
	s_waitcnt_vscnt null, 0x0
	s_barrier
	buffer_gl0_inv
	ds_write2_b64 v197, v[160:161], v[154:155] offset1:1
	v_lshrrev_b16 v154, 8, v188
	ds_write2_b64 v197, v[150:151], v[152:153] offset0:2 offset1:3
	v_mul_lo_u16 v150, v189, 37
	ds_write2_b64 v197, v[144:145], v[148:149] offset0:4 offset1:5
	ds_write_b64 v197, v[146:147] offset:48
	ds_write2_b64 v196, v[140:141], v[158:159] offset1:1
	v_sub_nc_u16 v144, v116, v154
	ds_write2_b64 v196, v[134:135], v[138:139] offset0:2 offset1:3
	ds_write2_b64 v196, v[132:133], v[142:143] offset0:4 offset1:5
	v_lshrrev_b16 v140, 8, v150
	ds_write_b64 v196, v[136:137] offset:48
	ds_write2_b64 v186, v[112:113], v[130:131] offset1:1
	ds_write2_b64 v186, v[124:125], v[126:127] offset0:2 offset1:3
	v_lshrrev_b16 v132, 1, v144
	ds_write2_b64 v186, v[96:97], v[88:89] offset0:4 offset1:5
	v_sub_nc_u16 v133, v236, v140
	ds_write_b64 v186, v[90:91] offset:48
	ds_write2_b64 v164, v[84:85], v[92:93] offset1:1
	ds_write2_b64 v164, v[98:99], v[102:103] offset0:2 offset1:3
	v_and_b32_e32 v112, 0x7f, v132
	ds_write2_b64 v164, v[100:101], v[106:107] offset0:4 offset1:5
	ds_write_b64 v164, v[104:105] offset:48
	v_lshrrev_b16 v88, 1, v133
	ds_write2_b64 v187, v[86:87], v[94:95] offset1:1
	v_mov_b32_e32 v219, v228
	v_add_nc_u16 v84, v112, v154
	v_mov_b32_e32 v228, v248
	v_and_b32_e32 v85, 0x7f, v88
	v_mov_b32_e32 v114, v199
	v_mov_b32_e32 v115, v195
	v_lshrrev_b16 v88, 2, v84
	v_mov_b32_e32 v218, v231
	v_add_nc_u16 v84, v85, v140
	v_mov_b32_e32 v231, v116
	v_mul_lo_u16 v85, v88, 7
	buffer_store_dword v88, off, s[28:31], 0 offset:60 ; 4-byte Folded Spill
	v_lshrrev_b16 v84, 2, v84
	ds_write2_b64 v187, v[108:109], v[168:169] offset0:2 offset1:3
	ds_write2_b64 v187, v[166:167], v[206:207] offset0:4 offset1:5
	ds_write_b64 v187, v[204:205] offset:48
	v_sub_nc_u16 v196, v116, v85
	buffer_store_dword v84, off, s[28:31], 0 offset:72 ; 4-byte Folded Spill
	ds_write2_b64 v165, v[110:111], v[200:201] offset1:1
	ds_write2_b64 v165, v[184:185], v[192:193] offset0:2 offset1:3
	v_mov_b32_e32 v184, 6
	v_mul_lo_u16 v84, v84, 7
	ds_write2_b64 v165, v[178:179], v[182:183] offset0:4 offset1:5
	ds_write_b64 v165, v[180:181] offset:48
	ds_write2_b64 v190, v[162:163], v[176:177] offset1:1
	ds_write2_b64 v190, v[172:173], v[174:175] offset0:2 offset1:3
	ds_write2_b64 v190, v[170:171], v[210:211] offset0:4 offset1:5
	buffer_store_dword v190, off, s[28:31], 0 offset:124 ; 4-byte Folded Spill
	v_mul_u32_u24_sdwa v85, v196, v184 dst_sel:DWORD dst_unused:UNUSED_PAD src0_sel:BYTE_0 src1_sel:DWORD
	v_sub_nc_u16 v255, v236, v84
	ds_write_b64 v190, v[208:209] offset:48
	s_waitcnt lgkmcnt(0)
	s_waitcnt_vscnt null, 0x0
	s_barrier
	v_lshlrev_b32_e32 v200, 4, v85
	v_mul_u32_u24_sdwa v84, v255, v184 dst_sel:DWORD dst_unused:UNUSED_PAD src0_sel:BYTE_0 src1_sel:DWORD
	buffer_gl0_inv
	v_and_b32_e32 v85, 0xff, v252
	v_mov_b32_e32 v201, 0x2493
	global_load_dwordx4 v[100:103], v200, s[8:9]
	v_lshlrev_b32_e32 v84, 4, v84
	s_clause 0x5
	global_load_dwordx4 v[104:107], v84, s[8:9]
	global_load_dwordx4 v[108:111], v200, s[8:9] offset:32
	global_load_dwordx4 v[132:135], v84, s[8:9] offset:32
	;; [unrolled: 1-line block ×5, first 2 shown]
	buffer_store_dword v85, off, s[28:31], 0 offset:52 ; 4-byte Folded Spill
	v_mul_lo_u16 v85, v85, 37
	v_lshrrev_b16 v85, 8, v85
	v_sub_nc_u16 v86, v252, v85
	v_lshrrev_b16 v86, 1, v86
	v_and_b32_e32 v86, 0x7f, v86
	v_add_nc_u16 v85, v86, v85
	v_and_b32_e32 v86, 0xff, v230
	v_lshrrev_b16 v197, 2, v85
	v_mul_lo_u16 v85, v197, 7
	v_sub_nc_u16 v254, v252, v85
	v_mul_u32_u24_sdwa v85, v254, v184 dst_sel:DWORD dst_unused:UNUSED_PAD src0_sel:BYTE_0 src1_sel:DWORD
	v_lshlrev_b32_e32 v85, 4, v85
	s_clause 0x2
	global_load_dwordx4 v[158:161], v85, s[8:9] offset:16
	global_load_dwordx4 v[162:165], v84, s[8:9] offset:48
	;; [unrolled: 1-line block ×3, first 2 shown]
	buffer_store_dword v86, off, s[28:31], 0 offset:44 ; 4-byte Folded Spill
	v_mul_lo_u16 v86, v86, 37
	s_clause 0x2
	global_load_dwordx4 v[189:192], v84, s[8:9] offset:80
	global_load_dwordx4 v[207:210], v85, s[8:9]
	global_load_dwordx4 v[203:206], v85, s[8:9] offset:80
	v_lshrrev_b16 v86, 8, v86
	v_sub_nc_u16 v84, v230, v86
	v_lshrrev_b16 v84, 1, v84
	v_and_b32_e32 v84, 0x7f, v84
	v_add_nc_u16 v84, v84, v86
	v_lshrrev_b16 v84, 2, v84
	buffer_store_dword v84, off, s[28:31], 0 offset:68 ; 4-byte Folded Spill
	v_mul_lo_u16 v84, v84, 7
	v_sub_nc_u16 v253, v230, v84
	v_mul_u32_u24_sdwa v84, v253, v184 dst_sel:DWORD dst_unused:UNUSED_PAD src0_sel:BYTE_0 src1_sel:DWORD
	v_lshlrev_b32_e32 v136, 4, v84
	s_clause 0x1
	global_load_dwordx4 v[220:223], v136, s[8:9]
	global_load_dwordx4 v[240:243], v85, s[8:9] offset:32
	v_and_b32_e32 v84, 0xff, v228
	s_clause 0x3
	global_load_dwordx4 v[245:248], v136, s[8:9] offset:32
	global_load_dwordx4 v[88:91], v136, s[8:9] offset:48
	;; [unrolled: 1-line block ×4, first 2 shown]
	buffer_store_dword v84, off, s[28:31], 0 offset:40 ; 4-byte Folded Spill
	v_mul_lo_u16 v84, v84, 37
	ds_read2_b64 v[124:127], v237 offset0:87 offset1:136
	global_load_dwordx4 v[232:235], v136, s[8:9] offset:64
	ds_read2_b64 v[150:153], v214 offset0:5 offset1:54
	ds_read2_b64 v[166:169], v199 offset0:179 offset1:228
	v_lshrrev_b16 v84, 8, v84
	buffer_store_dword v114, off, s[28:31], 0 offset:96 ; 4-byte Folded Spill
	buffer_store_dword v115, off, s[28:31], 0 offset:84 ; 4-byte Folded Spill
	v_sub_nc_u16 v85, v228, v84
	v_lshrrev_b16 v85, 1, v85
	v_and_b32_e32 v85, 0x7f, v85
	v_add_nc_u16 v84, v85, v84
	v_lshrrev_b16 v84, 2, v84
	buffer_store_dword v84, off, s[28:31], 0 offset:80 ; 4-byte Folded Spill
	v_mul_lo_u16 v84, v84, 7
	v_sub_nc_u16 v236, v228, v84
	v_mul_u32_u24_sdwa v84, v236, v184 dst_sel:DWORD dst_unused:UNUSED_PAD src0_sel:BYTE_0 src1_sel:DWORD
	v_lshlrev_b32_e32 v193, 4, v84
	s_clause 0x1
	global_load_dwordx4 v[92:95], v193, s[8:9] offset:16
	global_load_dwordx4 v[84:87], v193, s[8:9] offset:48
	s_waitcnt vmcnt(21) lgkmcnt(2)
	v_mul_f64 v[112:113], v[124:125], v[102:103]
	v_mul_f64 v[102:103], v[68:69], v[102:103]
	s_waitcnt vmcnt(20)
	v_mul_f64 v[130:131], v[126:127], v[106:107]
	v_mul_f64 v[106:107], v[70:71], v[106:107]
	v_fma_f64 v[172:173], v[68:69], v[100:101], -v[112:113]
	v_fma_f64 v[174:175], v[124:125], v[100:101], v[102:103]
	v_mul_u32_u24_sdwa v100, v249, v201 dst_sel:DWORD dst_unused:UNUSED_PAD src0_sel:WORD_0 src1_sel:DWORD
	s_waitcnt vmcnt(19) lgkmcnt(1)
	v_mul_f64 v[68:69], v[150:151], v[110:111]
	v_fma_f64 v[124:125], v[70:71], v[104:105], -v[130:131]
	v_fma_f64 v[126:127], v[126:127], v[104:105], v[106:107]
	v_mul_f64 v[110:111], v[80:81], v[110:111]
	v_lshrrev_b32_e32 v130, 16, v100
	global_load_dwordx4 v[100:103], v136, s[8:9] offset:80
	s_waitcnt vmcnt(19)
	v_mul_f64 v[70:71], v[152:153], v[134:135]
	v_mul_f64 v[112:113], v[82:83], v[134:135]
	s_waitcnt vmcnt(18) lgkmcnt(0)
	v_mul_f64 v[134:135], v[166:167], v[140:141]
	v_sub_nc_u16 v104, v249, v130
	v_mul_f64 v[140:141], v[76:77], v[140:141]
	v_lshrrev_b16 v104, 1, v104
	v_add_nc_u16 v104, v104, v130
	v_fma_f64 v[178:179], v[80:81], v[108:109], -v[68:69]
	s_waitcnt vmcnt(17)
	v_mul_f64 v[80:81], v[168:169], v[144:145]
	v_lshrrev_b16 v68, 2, v104
	global_load_dwordx4 v[104:107], v193, s[8:9] offset:80
	v_fma_f64 v[176:177], v[150:151], v[108:109], v[110:111]
	global_load_dwordx4 v[108:111], v193, s[8:9]
	v_fma_f64 v[130:131], v[82:83], v[132:133], -v[70:71]
	buffer_store_dword v68, off, s[28:31], 0 offset:76 ; 4-byte Folded Spill
	v_mul_lo_u16 v82, v68, 7
	ds_read2_b64 v[68:71], v194 offset0:95 offset1:144
	v_fma_f64 v[180:181], v[76:77], v[138:139], -v[134:135]
	v_fma_f64 v[136:137], v[152:153], v[132:133], v[112:113]
	v_mul_f64 v[112:113], v[78:79], v[144:145]
	v_sub_nc_u16 v238, v249, v82
	v_fma_f64 v[182:183], v[166:167], v[138:139], v[140:141]
	v_mul_u32_u24_sdwa v76, v238, v184 dst_sel:DWORD dst_unused:UNUSED_PAD src0_sel:WORD_0 src1_sel:DWORD
	v_lshlrev_b32_e32 v202, 4, v76
	v_fma_f64 v[140:141], v[78:79], v[142:143], -v[80:81]
	global_load_dwordx4 v[80:83], v202, s[8:9]
	s_waitcnt vmcnt(19) lgkmcnt(0)
	v_mul_f64 v[76:77], v[68:69], v[148:149]
	s_waitcnt vmcnt(18)
	v_mul_f64 v[132:133], v[70:71], v[160:161]
	v_fma_f64 v[152:153], v[168:169], v[142:143], v[112:113]
	v_mul_f64 v[112:113], v[72:73], v[148:149]
	ds_read2_b64 v[142:145], v244 offset0:141 offset1:190
	v_fma_f64 v[72:73], v[72:73], v[146:147], -v[76:77]
	global_load_dwordx4 v[76:79], v193, s[8:9] offset:32
	v_fma_f64 v[134:135], v[74:75], v[158:159], -v[132:133]
	s_waitcnt vmcnt(17) lgkmcnt(0)
	v_mul_f64 v[138:139], v[144:145], v[187:188]
	v_fma_f64 v[166:167], v[68:69], v[146:147], v[112:113]
	v_mul_f64 v[112:113], v[60:61], v[164:165]
	v_mul_f64 v[68:69], v[74:75], v[160:161]
	;; [unrolled: 1-line block ×3, first 2 shown]
	v_fma_f64 v[138:139], v[62:63], v[185:186], -v[138:139]
	v_fma_f64 v[168:169], v[142:143], v[162:163], v[112:113]
	v_mul_f64 v[112:113], v[62:63], v[187:188]
	v_fma_f64 v[74:75], v[60:61], v[162:163], -v[74:75]
	ds_read2_b64 v[60:63], v195 offset0:59 offset1:108
	v_fma_f64 v[132:133], v[70:71], v[158:159], v[68:69]
	global_load_dwordx4 v[68:71], v202, s[8:9] offset:32
	ds_read2_b64 v[160:163], v214 offset0:103 offset1:152
	s_waitcnt vmcnt(14)
	v_mul_f64 v[158:159], v[58:59], v[222:223]
	v_fma_f64 v[148:149], v[144:145], v[185:186], v[112:113]
	v_mul_f64 v[112:113], v[64:65], v[191:192]
	s_waitcnt lgkmcnt(1)
	v_mul_f64 v[150:151], v[62:63], v[205:206]
	v_mul_f64 v[146:147], v[60:61], v[191:192]
	ds_read2_b64 v[142:145], v237 offset0:185 offset1:234
	ds_read2_b64 v[185:188], v198 offset0:21 offset1:70
	s_waitcnt vmcnt(12) lgkmcnt(2)
	v_mul_f64 v[164:165], v[162:163], v[247:248]
	v_mov_b32_e32 v191, v198
	s_waitcnt vmcnt(10)
	v_mul_f64 v[198:199], v[48:49], v[226:227]
	buffer_store_dword v191, off, s[28:31], 0 offset:16 ; 4-byte Folded Spill
	v_fma_f64 v[170:171], v[60:61], v[189:190], v[112:113]
	v_mul_f64 v[60:61], v[66:67], v[205:206]
	v_fma_f64 v[150:151], v[66:67], v[203:204], -v[150:151]
	v_mul_f64 v[66:67], v[56:57], v[209:210]
	s_waitcnt lgkmcnt(1)
	v_mul_f64 v[112:113], v[142:143], v[209:210]
	v_fma_f64 v[64:65], v[64:65], v[189:190], -v[146:147]
	s_waitcnt lgkmcnt(0)
	v_mul_f64 v[189:190], v[185:186], v[226:227]
	v_fma_f64 v[60:61], v[62:63], v[203:204], v[60:61]
	v_mul_f64 v[62:63], v[144:145], v[222:223]
	v_fma_f64 v[146:147], v[142:143], v[207:208], v[66:67]
	v_mul_f64 v[66:67], v[160:161], v[242:243]
	v_mul_f64 v[142:143], v[52:53], v[242:243]
	v_fma_f64 v[154:155], v[56:57], v[207:208], -v[112:113]
	v_fma_f64 v[112:113], v[144:145], v[220:221], v[158:159]
	v_mul_f64 v[144:145], v[54:55], v[247:248]
	ds_read2_b64 v[203:206], v251 offset0:111 offset1:160
	s_waitcnt vmcnt(8)
	v_mul_f64 v[207:208], v[50:51], v[234:235]
	v_mov_b32_e32 v251, v217
	v_fma_f64 v[62:63], v[58:59], v[220:221], -v[62:63]
	global_load_dwordx4 v[56:59], v193, s[8:9] offset:64
	ds_read2_b64 v[192:195], v250 offset0:65 offset1:114
	v_fma_f64 v[158:159], v[52:53], v[240:241], -v[66:67]
	v_mul_f64 v[66:67], v[187:188], v[234:235]
	v_fma_f64 v[160:161], v[160:161], v[240:241], v[142:143]
	v_fma_f64 v[142:143], v[54:55], v[245:246], -v[164:165]
	v_fma_f64 v[164:165], v[48:49], v[224:225], -v[189:190]
	v_mul_u32_u24_sdwa v189, v219, v201 dst_sel:DWORD dst_unused:UNUSED_PAD src0_sel:WORD_0 src1_sel:DWORD
	v_fma_f64 v[144:145], v[162:163], v[245:246], v[144:145]
	v_fma_f64 v[162:163], v[185:186], v[224:225], v[198:199]
	global_load_dwordx4 v[52:55], v202, s[8:9] offset:64
	ds_read2_b64 v[220:223], v115 offset0:157 offset1:206
	v_lshrrev_b32_e32 v189, 16, v189
	s_waitcnt lgkmcnt(1)
	v_mul_f64 v[185:186], v[192:193], v[98:99]
	v_mul_f64 v[98:99], v[44:45], v[98:99]
	v_fma_f64 v[48:49], v[50:51], v[232:233], -v[66:67]
	v_mul_f64 v[50:51], v[203:204], v[90:91]
	v_mul_f64 v[66:67], v[40:41], v[90:91]
	v_fma_f64 v[90:91], v[187:188], v[232:233], v[207:208]
	v_sub_nc_u16 v187, v219, v189
	global_load_dwordx4 v[208:211], v200, s[8:9] offset:16
	v_lshrrev_b16 v187, 1, v187
	v_add_nc_u16 v187, v187, v189
	v_fma_f64 v[188:189], v[44:45], v[96:97], -v[185:186]
	s_waitcnt vmcnt(10)
	v_mul_f64 v[44:45], v[194:195], v[94:95]
	v_lshrrev_b16 v235, 2, v187
	v_mul_f64 v[94:95], v[46:47], v[94:95]
	v_fma_f64 v[232:233], v[192:193], v[96:97], v[98:99]
	v_fma_f64 v[192:193], v[40:41], v[88:89], -v[50:51]
	v_fma_f64 v[88:89], v[203:204], v[88:89], v[66:67]
	v_mul_lo_u16 v50, v235, 7
	s_waitcnt vmcnt(9)
	v_mul_f64 v[40:41], v[205:206], v[86:87]
	v_sub_nc_u16 v234, v219, v50
	v_mul_u32_u24_sdwa v50, v234, v184 dst_sel:DWORD dst_unused:UNUSED_PAD src0_sel:WORD_0 src1_sel:DWORD
	ds_read2_b64 v[184:187], v229 offset0:27 offset1:76
	v_fma_f64 v[96:97], v[46:47], v[92:93], -v[44:45]
	v_lshlrev_b32_e32 v46, 4, v50
	v_mul_f64 v[44:45], v[42:43], v[86:87]
	v_fma_f64 v[86:87], v[194:195], v[92:93], v[94:95]
	global_load_dwordx4 v[224:227], v46, s[8:9]
	v_fma_f64 v[92:93], v[42:43], v[84:85], -v[40:41]
	global_load_dwordx4 v[40:43], v202, s[8:9] offset:16
	s_waitcnt vmcnt(10) lgkmcnt(1)
	v_mul_f64 v[50:51], v[220:221], v[102:103]
	v_mul_f64 v[66:67], v[36:37], v[102:103]
	v_fma_f64 v[102:103], v[205:206], v[84:85], v[44:45]
	ds_read2_b64 v[203:206], v214 offset0:201 offset1:250
	s_waitcnt vmcnt(9)
	v_mul_f64 v[94:95], v[222:223], v[106:107]
	v_mul_f64 v[84:85], v[38:39], v[106:107]
	v_fma_f64 v[194:195], v[36:37], v[100:101], -v[50:51]
	s_waitcnt vmcnt(8) lgkmcnt(1)
	v_mul_f64 v[50:51], v[184:185], v[110:111]
	v_fma_f64 v[198:199], v[220:221], v[100:101], v[66:67]
	v_mul_f64 v[66:67], v[32:33], v[110:111]
	v_fma_f64 v[44:45], v[38:39], v[104:105], -v[94:95]
	global_load_dwordx4 v[36:39], v46, s[8:9] offset:16
	v_fma_f64 v[100:101], v[222:223], v[104:105], v[84:85]
	v_fma_f64 v[84:85], v[32:33], v[108:109], -v[50:51]
	global_load_dwordx4 v[220:223], v46, s[8:9] offset:32
	v_fma_f64 v[106:107], v[184:185], v[108:109], v[66:67]
	global_load_dwordx4 v[108:111], v200, s[8:9] offset:48
	s_waitcnt vmcnt(10)
	v_mul_f64 v[94:95], v[186:187], v[82:83]
	v_mul_f64 v[32:33], v[34:35], v[82:83]
	v_fma_f64 v[184:185], v[34:35], v[80:81], -v[94:95]
	s_waitcnt vmcnt(9) lgkmcnt(0)
	v_mul_f64 v[34:35], v[203:204], v[78:79]
	v_fma_f64 v[186:187], v[186:187], v[80:81], v[32:33]
	v_mul_f64 v[32:33], v[28:29], v[78:79]
	s_clause 0x2
	global_load_dwordx4 v[78:81], v200, s[8:9] offset:80
	global_load_dwordx4 v[240:243], v202, s[8:9] offset:48
	;; [unrolled: 1-line block ×3, first 2 shown]
	v_fma_f64 v[28:29], v[28:29], v[76:77], -v[34:35]
	v_fma_f64 v[32:33], v[203:204], v[76:77], v[32:33]
	s_waitcnt vmcnt(11)
	v_mul_f64 v[34:35], v[205:206], v[70:71]
	v_fma_f64 v[200:201], v[30:31], v[68:69], -v[34:35]
	v_mul_f64 v[30:31], v[30:31], v[70:71]
	v_fma_f64 v[202:203], v[205:206], v[68:69], v[30:31]
	ds_read2_b64 v[66:69], v191 offset0:119 offset1:168
	s_waitcnt vmcnt(10) lgkmcnt(0)
	v_mul_f64 v[30:31], v[66:67], v[58:59]
	v_mul_f64 v[34:35], v[24:25], v[58:59]
	s_waitcnt vmcnt(9)
	v_mul_f64 v[50:51], v[26:27], v[54:55]
	v_fma_f64 v[24:25], v[24:25], v[56:57], -v[30:31]
	v_fma_f64 v[30:31], v[66:67], v[56:57], v[34:35]
	v_mul_f64 v[34:35], v[68:69], v[54:55]
	ds_read2_b64 v[54:57], v229 offset0:125 offset1:174
	v_fma_f64 v[206:207], v[68:69], v[52:53], v[50:51]
	ds_read2_b64 v[66:69], v244 offset0:43 offset1:92
	v_fma_f64 v[204:205], v[26:27], v[52:53], -v[34:35]
	s_waitcnt vmcnt(8) lgkmcnt(1)
	v_mul_f64 v[26:27], v[56:57], v[210:211]
	v_mul_f64 v[34:35], v[18:19], v[210:211]
	v_fma_f64 v[26:27], v[18:19], v[208:209], -v[26:27]
	v_fma_f64 v[34:35], v[56:57], v[208:209], v[34:35]
	ds_read2_b64 v[56:59], v250 offset0:163 offset1:212
	s_waitcnt vmcnt(7)
	v_mul_f64 v[50:51], v[54:55], v[226:227]
	v_mul_f64 v[18:19], v[16:17], v[226:227]
	v_fma_f64 v[52:53], v[16:17], v[224:225], -v[50:51]
	s_waitcnt vmcnt(6) lgkmcnt(0)
	v_mul_f64 v[16:17], v[56:57], v[42:43]
	v_mul_f64 v[50:51], v[20:21], v[42:43]
	v_fma_f64 v[42:43], v[54:55], v[224:225], v[18:19]
	global_load_dwordx4 v[224:227], v46, s[8:9] offset:48
	v_fma_f64 v[20:21], v[20:21], v[40:41], -v[16:17]
	v_fma_f64 v[18:19], v[56:57], v[40:41], v[50:51]
	s_waitcnt vmcnt(6)
	v_mul_f64 v[54:55], v[58:59], v[38:39]
	v_mul_f64 v[70:71], v[22:23], v[38:39]
	s_waitcnt vmcnt(5)
	v_mul_f64 v[50:51], v[8:9], v[222:223]
	s_waitcnt vmcnt(4)
	v_mul_f64 v[16:17], v[68:69], v[110:111]
	v_mul_f64 v[40:41], v[10:11], v[110:111]
	v_fma_f64 v[38:39], v[22:23], v[36:37], -v[54:55]
	v_mul_f64 v[22:23], v[66:67], v[222:223]
	ds_read2_b64 v[54:57], v212 offset0:89 offset1:138
	v_fma_f64 v[36:37], v[58:59], v[36:37], v[70:71]
	v_fma_f64 v[16:17], v[10:11], v[108:109], -v[16:17]
	v_fma_f64 v[76:77], v[68:69], v[108:109], v[40:41]
	ds_read2_b64 v[68:71], v114 offset0:81 offset1:130
	s_waitcnt vmcnt(3)
	v_mul_f64 v[40:41], v[2:3], v[80:81]
	v_fma_f64 v[10:11], v[8:9], v[220:221], -v[22:23]
	s_waitcnt lgkmcnt(1)
	v_mul_f64 v[22:23], v[56:57], v[80:81]
	v_fma_f64 v[8:9], v[66:67], v[220:221], v[50:51]
	s_waitcnt vmcnt(2)
	v_mul_f64 v[66:67], v[12:13], v[242:243]
	s_waitcnt lgkmcnt(0)
	v_mul_f64 v[50:51], v[68:69], v[242:243]
	ds_read2_b64 v[80:83], v213 offset0:127 offset1:176
	v_add_f64 v[220:221], v[124:125], -v[64:65]
	v_fma_f64 v[94:95], v[2:3], v[78:79], -v[22:23]
	v_fma_f64 v[78:79], v[56:57], v[78:79], v[40:41]
	global_load_dwordx4 v[56:59], v46, s[8:9] offset:64
	v_fma_f64 v[22:23], v[68:69], v[240:241], v[66:67]
	global_load_dwordx4 v[66:69], v46, s[8:9] offset:80
	v_fma_f64 v[210:211], v[12:13], v[240:241], -v[50:51]
	s_waitcnt vmcnt(3) lgkmcnt(0)
	v_mul_f64 v[2:3], v[80:81], v[247:248]
	v_mul_f64 v[12:13], v[4:5], v[247:248]
	v_add_f64 v[50:51], v[26:27], v[180:181]
	v_add_f64 v[46:47], v[174:175], v[78:79]
	v_add_f64 v[78:79], v[174:175], -v[78:79]
	v_fma_f64 v[4:5], v[4:5], v[245:246], -v[2:3]
	v_fma_f64 v[208:209], v[80:81], v[245:246], v[12:13]
	s_waitcnt vmcnt(2)
	v_mul_f64 v[2:3], v[70:71], v[226:227]
	v_mul_f64 v[12:13], v[14:15], v[226:227]
	v_fma_f64 v[2:3], v[14:15], v[224:225], -v[2:3]
	v_fma_f64 v[40:41], v[70:71], v[224:225], v[12:13]
	v_add_f64 v[12:13], v[172:173], v[94:95]
	v_add_f64 v[70:71], v[34:35], v[182:183]
	;; [unrolled: 1-line block ×4, first 2 shown]
	s_waitcnt vmcnt(1)
	v_mul_f64 v[14:15], v[54:55], v[58:59]
	s_waitcnt vmcnt(0)
	v_mul_f64 v[104:105], v[82:83], v[68:69]
	v_mul_f64 v[68:69], v[6:7], v[68:69]
	v_fma_f64 v[212:213], v[0:1], v[56:57], -v[14:15]
	v_mul_f64 v[0:1], v[0:1], v[58:59]
	v_add_f64 v[14:15], v[26:27], -v[180:181]
	v_add_f64 v[26:27], v[34:35], -v[182:183]
	v_add_f64 v[34:35], v[178:179], v[16:17]
	v_add_f64 v[58:59], v[176:177], v[76:77]
	v_add_f64 v[76:77], v[76:77], -v[176:177]
	v_add_f64 v[16:17], v[16:17], -v[178:179]
	v_fma_f64 v[6:7], v[6:7], v[66:67], -v[104:105]
	v_fma_f64 v[180:181], v[82:83], v[66:67], v[68:69]
	v_add_f64 v[176:177], v[166:167], v[152:153]
	v_fma_f64 v[0:1], v[54:55], v[56:57], v[0:1]
	v_add_f64 v[56:57], v[172:173], -v[94:95]
	v_add_f64 v[174:175], v[26:27], -v[78:79]
	;; [unrolled: 1-line block ×3, first 2 shown]
	v_add_f64 v[80:81], v[34:35], v[80:81]
	v_add_f64 v[108:109], v[58:59], v[98:99]
	v_add_f64 v[34:35], v[34:35], -v[50:51]
	v_add_f64 v[110:111], v[58:59], -v[70:71]
	v_add_f64 v[172:173], v[76:77], -v[26:27]
	v_add_f64 v[58:59], v[46:47], -v[58:59]
	ds_read_b64 v[98:99], v218
	v_add_f64 v[104:105], v[16:17], -v[14:15]
	v_add_f64 v[12:13], v[50:51], -v[12:13]
	;; [unrolled: 1-line block ×3, first 2 shown]
	v_add_f64 v[50:51], v[16:17], v[14:15]
	v_add_f64 v[26:27], v[76:77], v[26:27]
	v_add_f64 v[76:77], v[78:79], -v[76:77]
	ds_read_b64 v[68:69], v239
	ds_read_b64 v[82:83], v117
	ds_read_b64 v[182:183], v217
	v_mov_b32_e32 v217, v230
	v_mov_b32_e32 v230, v252
	v_add_f64 v[14:15], v[14:15], -v[56:57]
	v_add_f64 v[16:17], v[56:57], -v[16:17]
	v_mul_f64 v[66:67], v[94:95], s[10:11]
	v_add_f64 v[54:55], v[122:123], v[80:81]
	v_mul_f64 v[70:71], v[34:35], s[24:25]
	v_mul_f64 v[94:95], v[110:111], s[24:25]
	s_waitcnt lgkmcnt(3)
	v_add_f64 v[98:99], v[98:99], v[108:109]
	v_mul_f64 v[122:123], v[172:173], s[22:23]
	v_mul_f64 v[172:173], v[174:175], s[4:5]
	;; [unrolled: 1-line block ×4, first 2 shown]
	v_add_f64 v[50:51], v[50:51], v[56:57]
	v_add_f64 v[26:27], v[26:27], v[78:79]
	v_mul_f64 v[56:57], v[14:15], s[4:5]
	v_fma_f64 v[34:35], v[34:35], s[24:25], v[66:67]
	v_fma_f64 v[78:79], v[80:81], s[14:15], v[54:55]
	v_fma_f64 v[70:71], v[12:13], s[6:7], -v[70:71]
	v_fma_f64 v[94:95], v[46:47], s[6:7], -v[94:95]
	v_fma_f64 v[80:81], v[108:109], s[14:15], v[98:99]
	v_fma_f64 v[12:13], v[12:13], s[16:17], -v[66:67]
	v_fma_f64 v[66:67], v[174:175], s[4:5], -v[122:123]
	;; [unrolled: 1-line block ×3, first 2 shown]
	v_fma_f64 v[110:111], v[110:111], s[24:25], v[58:59]
	v_fma_f64 v[46:47], v[46:47], s[16:17], -v[58:59]
	v_fma_f64 v[58:59], v[76:77], s[18:19], v[122:123]
	v_add_f64 v[122:123], v[124:125], v[64:65]
	v_add_f64 v[172:173], v[126:127], v[170:171]
	;; [unrolled: 1-line block ×3, first 2 shown]
	v_fma_f64 v[14:15], v[14:15], s[4:5], -v[104:105]
	v_fma_f64 v[76:77], v[16:17], s[18:19], v[104:105]
	v_add_f64 v[72:73], v[72:73], -v[140:141]
	v_add_f64 v[104:105], v[166:167], -v[152:153]
	v_add_f64 v[140:141], v[136:137], v[168:169]
	v_fma_f64 v[16:17], v[16:17], s[20:21], -v[56:57]
	v_add_f64 v[166:167], v[168:169], -v[136:137]
	v_add_f64 v[168:169], v[74:75], -v[130:131]
	v_add_f64 v[34:35], v[34:35], v[78:79]
	v_add_f64 v[170:171], v[126:127], -v[170:171]
	v_add_f64 v[56:57], v[70:71], v[78:79]
	v_add_f64 v[70:71], v[94:95], v[80:81]
	;; [unrolled: 1-line block ×3, first 2 shown]
	v_fma_f64 v[66:67], v[26:27], s[0:1], v[66:67]
	v_fma_f64 v[94:95], v[26:27], s[0:1], v[108:109]
	v_add_f64 v[108:109], v[130:131], v[74:75]
	v_add_f64 v[46:47], v[46:47], v[80:81]
	v_fma_f64 v[26:27], v[26:27], s[0:1], v[58:59]
	v_add_f64 v[58:59], v[110:111], v[80:81]
	v_add_f64 v[152:153], v[176:177], v[172:173]
	;; [unrolled: 1-line block ×3, first 2 shown]
	v_fma_f64 v[14:15], v[50:51], s[0:1], v[14:15]
	v_add_f64 v[222:223], v[140:141], -v[176:177]
	v_fma_f64 v[16:17], v[50:51], s[0:1], v[16:17]
	v_fma_f64 v[50:51], v[50:51], s[0:1], v[76:77]
	v_add_f64 v[226:227], v[168:169], -v[72:73]
	v_add_f64 v[224:225], v[166:167], -v[104:105]
	;; [unrolled: 1-line block ×3, first 2 shown]
	v_add_f64 v[74:75], v[94:95], v[12:13]
	v_add_f64 v[64:65], v[66:67], v[56:57]
	v_add_f64 v[66:67], v[12:13], -v[94:95]
	v_add_f64 v[12:13], v[168:169], v[72:73]
	v_add_f64 v[178:179], v[26:27], v[34:35]
	;; [unrolled: 1-line block ×5, first 2 shown]
	v_add_f64 v[140:141], v[172:173], -v[140:141]
	v_add_f64 v[126:127], v[70:71], -v[14:15]
	v_add_f64 v[14:15], v[72:73], -v[220:221]
	v_add_f64 v[72:73], v[34:35], -v[26:27]
	v_add_f64 v[136:137], v[46:47], -v[16:17]
	v_add_f64 v[130:131], v[16:17], v[46:47]
	v_add_f64 v[26:27], v[176:177], -v[172:173]
	v_mul_f64 v[70:71], v[222:223], s[24:25]
	v_add_f64 v[110:111], v[108:109], -v[174:175]
	v_add_f64 v[108:109], v[122:123], -v[108:109]
	;; [unrolled: 1-line block ×5, first 2 shown]
	v_add_f64 v[34:35], v[166:167], v[104:105]
	v_mul_f64 v[104:105], v[224:225], s[22:23]
	v_add_f64 v[172:173], v[146:147], v[60:61]
	v_add_f64 v[174:175], v[158:159], v[138:139]
	;; [unrolled: 1-line block ×3, first 2 shown]
	v_add_f64 v[158:159], v[138:139], -v[158:159]
	s_waitcnt lgkmcnt(2)
	v_add_f64 v[94:95], v[68:69], v[80:81]
	v_add_f64 v[46:47], v[120:121], v[78:79]
	v_mul_f64 v[120:121], v[226:227], s[22:23]
	v_mul_f64 v[122:123], v[140:141], s[10:11]
	v_add_f64 v[140:141], v[50:51], v[58:59]
	v_add_f64 v[58:59], v[170:171], -v[166:167]
	v_mul_f64 v[166:167], v[14:15], s[4:5]
	v_add_f64 v[50:51], v[220:221], -v[168:169]
	v_add_f64 v[220:221], v[160:161], v[148:149]
	v_add_f64 v[148:149], v[148:149], -v[160:161]
	v_fma_f64 v[70:71], v[26:27], s[6:7], -v[70:71]
	v_mul_f64 v[68:69], v[110:111], s[24:25]
	v_mul_f64 v[108:109], v[108:109], s[10:11]
	;; [unrolled: 1-line block ×3, first 2 shown]
	v_add_f64 v[34:35], v[34:35], v[170:171]
	v_fma_f64 v[56:57], v[56:57], s[4:5], -v[104:105]
	v_fma_f64 v[80:81], v[80:81], s[14:15], v[94:95]
	v_fma_f64 v[78:79], v[78:79], s[14:15], v[46:47]
	v_fma_f64 v[14:15], v[14:15], s[4:5], -v[120:121]
	v_fma_f64 v[170:171], v[222:223], s[24:25], v[122:123]
	v_fma_f64 v[26:27], v[26:27], s[16:17], -v[122:123]
	v_fma_f64 v[104:105], v[58:59], s[18:19], v[104:105]
	v_add_f64 v[138:139], v[172:173], -v[220:221]
	v_fma_f64 v[68:69], v[16:17], s[6:7], -v[68:69]
	v_fma_f64 v[110:111], v[110:111], s[24:25], v[108:109]
	v_fma_f64 v[16:17], v[16:17], s[16:17], -v[108:109]
	v_fma_f64 v[108:109], v[50:51], s[18:19], v[120:121]
	v_fma_f64 v[50:51], v[50:51], s[20:21], -v[166:167]
	v_fma_f64 v[58:59], v[58:59], s[20:21], -v[168:169]
	v_add_f64 v[166:167], v[154:155], v[150:151]
	v_add_f64 v[168:169], v[134:135], v[164:165]
	v_add_f64 v[134:135], v[134:135], -v[164:165]
	v_add_f64 v[164:165], v[132:133], v[162:163]
	v_fma_f64 v[120:121], v[34:35], s[0:1], v[56:57]
	v_add_f64 v[70:71], v[70:71], v[80:81]
	v_add_f64 v[162:163], v[132:133], -v[162:163]
	v_fma_f64 v[14:15], v[12:13], s[0:1], v[14:15]
	v_add_f64 v[150:151], v[154:155], -v[150:151]
	v_add_f64 v[170:171], v[170:171], v[80:81]
	v_add_f64 v[26:27], v[26:27], v[80:81]
	;; [unrolled: 1-line block ×5, first 2 shown]
	v_fma_f64 v[80:81], v[12:13], s[0:1], v[50:51]
	v_fma_f64 v[58:59], v[34:35], s[0:1], v[58:59]
	v_add_f64 v[132:133], v[166:167], -v[174:175]
	v_add_f64 v[78:79], v[168:169], v[166:167]
	v_add_f64 v[160:161], v[174:175], -v[168:169]
	v_add_f64 v[222:223], v[220:221], -v[164:165]
	v_fma_f64 v[12:13], v[12:13], s[0:1], v[108:109]
	v_fma_f64 v[34:35], v[34:35], s[0:1], v[104:105]
	v_add_f64 v[104:105], v[168:169], -v[166:167]
	v_add_f64 v[122:123], v[14:15], v[70:71]
	v_add_f64 v[14:15], v[70:71], -v[14:15]
	buffer_store_dword v14, off, s[28:31], 0 offset:108 ; 4-byte Folded Spill
	buffer_store_dword v15, off, s[28:31], 0 offset:112 ; 4-byte Folded Spill
	v_add_f64 v[56:57], v[68:69], -v[120:121]
	v_add_f64 v[50:51], v[120:121], v[68:69]
	v_add_f64 v[14:15], v[146:147], -v[60:61]
	v_add_f64 v[68:69], v[164:165], v[172:173]
	;; [unrolled: 2-line block ×3, first 2 shown]
	v_add_f64 v[164:165], v[148:149], v[162:163]
	v_add_f64 v[166:167], v[158:159], -v[134:135]
	v_add_f64 v[78:79], v[174:175], v[78:79]
	v_add_f64 v[168:169], v[134:135], -v[150:151]
	v_mul_f64 v[172:173], v[132:133], s[10:11]
	v_mul_f64 v[174:175], v[138:139], s[10:11]
	;; [unrolled: 1-line block ×4, first 2 shown]
	v_add_f64 v[70:71], v[58:59], v[16:17]
	v_add_f64 v[58:59], v[16:17], -v[58:59]
	v_add_f64 v[138:139], v[26:27], -v[80:81]
	v_add_f64 v[132:133], v[80:81], v[26:27]
	v_add_f64 v[176:177], v[34:35], v[110:111]
	v_add_f64 v[60:61], v[110:111], -v[34:35]
	v_add_f64 v[154:155], v[170:171], -v[12:13]
	v_add_f64 v[134:135], v[12:13], v[170:171]
	v_add_f64 v[12:13], v[148:149], -v[162:163]
	v_add_f64 v[16:17], v[150:151], -v[158:159]
	;; [unrolled: 1-line block ×4, first 2 shown]
	v_add_f64 v[68:69], v[220:221], v[68:69]
	v_add_f64 v[110:111], v[146:147], v[150:151]
	;; [unrolled: 1-line block ×3, first 2 shown]
	v_mul_f64 v[146:147], v[166:167], s[22:23]
	v_add_f64 v[34:35], v[128:129], v[78:79]
	v_mul_f64 v[128:129], v[168:169], s[4:5]
	v_add_f64 v[164:165], v[62:63], v[194:195]
	v_add_f64 v[170:171], v[188:189], v[48:49]
	v_fma_f64 v[148:149], v[160:161], s[24:25], v[172:173]
	v_fma_f64 v[150:151], v[222:223], s[24:25], v[174:175]
	v_fma_f64 v[158:159], v[104:105], s[6:7], -v[224:225]
	v_fma_f64 v[160:161], v[108:109], s[6:7], -v[226:227]
	;; [unrolled: 1-line block ×4, first 2 shown]
	v_add_f64 v[174:175], v[144:145], v[88:89]
	v_add_f64 v[144:145], v[88:89], -v[144:145]
	buffer_load_dword v239, off, s[28:31], 0 ; 4-byte Folded Reload
	v_add_f64 v[166:167], v[112:113], v[198:199]
	v_mul_f64 v[12:13], v[12:13], s[22:23]
	v_add_f64 v[172:173], v[232:233], v[90:91]
	v_add_f64 v[48:49], v[188:189], -v[48:49]
	v_add_f64 v[90:91], v[232:233], -v[90:91]
	s_waitcnt lgkmcnt(1)
	v_add_f64 v[104:105], v[82:83], v[68:69]
	v_add_f64 v[112:113], v[112:113], -v[198:199]
	v_add_f64 v[62:63], v[62:63], -v[194:195]
	v_fma_f64 v[82:83], v[168:169], s[4:5], -v[146:147]
	v_fma_f64 v[146:147], v[16:17], s[18:19], v[146:147]
	v_fma_f64 v[16:17], v[16:17], s[20:21], -v[128:129]
	v_mul_f64 v[128:129], v[80:81], s[4:5]
	v_fma_f64 v[78:79], v[78:79], s[14:15], v[34:35]
	v_add_f64 v[168:169], v[142:143], v[192:193]
	v_add_f64 v[88:89], v[170:171], v[164:165]
	v_add_f64 v[142:143], v[192:193], -v[142:143]
	v_add_f64 v[220:221], v[106:107], v[100:101]
	v_add_f64 v[222:223], v[96:97], v[24:25]
	;; [unrolled: 1-line block ×3, first 2 shown]
	v_add_f64 v[86:87], v[86:87], -v[30:31]
	v_add_f64 v[100:101], v[106:107], -v[100:101]
	;; [unrolled: 1-line block ×3, first 2 shown]
	v_fma_f64 v[190:191], v[26:27], s[18:19], v[12:13]
	v_add_f64 v[188:189], v[172:173], v[166:167]
	v_fma_f64 v[80:81], v[80:81], s[4:5], -v[12:13]
	v_add_f64 v[198:199], v[144:145], -v[90:91]
	v_fma_f64 v[68:69], v[68:69], s[14:15], v[104:105]
	v_add_f64 v[166:167], v[172:173], -v[166:167]
	v_fma_f64 v[82:83], v[110:111], s[0:1], v[82:83]
	v_fma_f64 v[146:147], v[110:111], s[0:1], v[146:147]
	;; [unrolled: 1-line block ×3, first 2 shown]
	v_fma_f64 v[26:27], v[26:27], s[20:21], -v[128:129]
	v_add_f64 v[128:129], v[148:149], v[78:79]
	v_add_f64 v[148:149], v[158:159], v[78:79]
	;; [unrolled: 1-line block ×3, first 2 shown]
	s_clause 0x1
	buffer_load_dword v88, off, s[28:31], 0 offset:12
	buffer_load_dword v89, off, s[28:31], 0 offset:28
	v_add_f64 v[192:193], v[164:165], -v[168:169]
	v_add_f64 v[168:169], v[168:169], -v[170:171]
	v_add_f64 v[78:79], v[162:163], v[78:79]
	v_add_f64 v[162:163], v[142:143], -v[48:49]
	v_add_f64 v[110:111], v[142:143], v[48:49]
	v_add_f64 v[48:49], v[48:49], -v[62:63]
	v_add_f64 v[142:143], v[62:63], -v[142:143]
	v_add_f64 v[188:189], v[174:175], v[188:189]
	v_add_f64 v[174:175], v[174:175], -v[172:173]
	v_fma_f64 v[80:81], v[14:15], s[0:1], v[80:81]
	v_add_f64 v[150:151], v[150:151], v[68:69]
	v_add_f64 v[160:161], v[160:161], v[68:69]
	;; [unrolled: 1-line block ×3, first 2 shown]
	v_add_f64 v[68:69], v[170:171], -v[164:165]
	v_add_f64 v[164:165], v[90:91], -v[112:113]
	v_add_f64 v[90:91], v[144:145], v[90:91]
	v_mul_f64 v[170:171], v[194:195], s[10:11]
	v_add_f64 v[144:145], v[112:113], -v[144:145]
	v_fma_f64 v[190:191], v[14:15], s[0:1], v[190:191]
	v_add_f64 v[12:13], v[215:216], v[158:159]
	v_fma_f64 v[14:15], v[14:15], s[0:1], v[26:27]
	v_mul_f64 v[116:117], v[192:193], s[10:11]
	v_mul_f64 v[172:173], v[168:169], s[24:25]
	;; [unrolled: 1-line block ×4, first 2 shown]
	v_add_f64 v[110:111], v[110:111], v[62:63]
	s_waitcnt lgkmcnt(0)
	v_add_f64 v[120:121], v[182:183], v[188:189]
	v_mul_f64 v[182:183], v[174:175], s[24:25]
	v_mul_f64 v[62:63], v[164:165], s[4:5]
	v_add_f64 v[90:91], v[90:91], v[112:113]
	v_mul_f64 v[112:113], v[48:49], s[4:5]
	v_fma_f64 v[194:195], v[174:175], s[24:25], v[170:171]
	v_add_f64 v[174:175], v[190:191], v[128:129]
	v_fma_f64 v[158:159], v[158:159], s[14:15], v[12:13]
	v_fma_f64 v[168:169], v[168:169], s[24:25], v[116:117]
	v_fma_f64 v[172:173], v[68:69], s[6:7], -v[172:173]
	v_fma_f64 v[116:117], v[68:69], s[16:17], -v[116:117]
	v_fma_f64 v[198:199], v[142:143], s[18:19], v[162:163]
	v_fma_f64 v[164:165], v[164:165], s[4:5], -v[192:193]
	v_fma_f64 v[192:193], v[144:145], s[18:19], v[192:193]
	v_add_f64 v[68:69], v[148:149], -v[80:81]
	v_fma_f64 v[188:189], v[188:189], s[14:15], v[120:121]
	v_fma_f64 v[182:183], v[166:167], s[6:7], -v[182:183]
	v_fma_f64 v[166:167], v[166:167], s[16:17], -v[170:171]
	;; [unrolled: 1-line block ×3, first 2 shown]
	v_add_f64 v[162:163], v[108:109], -v[16:17]
	v_fma_f64 v[26:27], v[144:145], s[20:21], -v[62:63]
	v_add_f64 v[62:63], v[80:81], v[148:149]
	v_fma_f64 v[112:113], v[142:143], s[20:21], -v[112:113]
	v_add_f64 v[144:145], v[82:83], v[160:161]
	v_add_f64 v[142:143], v[160:161], -v[82:83]
	v_add_f64 v[82:83], v[14:15], v[78:79]
	v_add_f64 v[80:81], v[78:79], -v[14:15]
	v_add_f64 v[160:161], v[16:17], v[108:109]
	v_add_f64 v[148:149], v[168:169], v[158:159]
	;; [unrolled: 1-line block ×3, first 2 shown]
	v_add_f64 v[14:15], v[96:97], -v[24:25]
	v_add_f64 v[16:17], v[92:93], -v[28:29]
	v_add_f64 v[96:97], v[102:103], -v[32:33]
	v_fma_f64 v[192:193], v[90:91], s[0:1], v[192:193]
	v_add_f64 v[78:79], v[128:129], -v[190:191]
	v_add_f64 v[168:169], v[194:195], v[188:189]
	v_add_f64 v[172:173], v[182:183], v[188:189]
	;; [unrolled: 1-line block ×3, first 2 shown]
	v_fma_f64 v[194:195], v[110:111], s[0:1], v[198:199]
	v_add_f64 v[198:199], v[84:85], v[44:45]
	v_fma_f64 v[116:117], v[90:91], s[0:1], v[164:165]
	v_add_f64 v[166:167], v[166:167], v[188:189]
	v_add_f64 v[188:189], v[28:29], v[92:93]
	v_add_f64 v[164:165], v[150:151], -v[146:147]
	v_fma_f64 v[90:91], v[90:91], s[0:1], v[26:27]
	v_fma_f64 v[226:227], v[110:111], s[0:1], v[48:49]
	;; [unrolled: 1-line block ×3, first 2 shown]
	v_add_f64 v[158:159], v[146:147], v[150:151]
	v_add_f64 v[92:93], v[32:33], v[102:103]
	v_add_f64 v[146:147], v[224:225], v[220:221]
	v_add_f64 v[44:45], v[84:85], -v[44:45]
	v_add_f64 v[190:191], v[224:225], -v[220:221]
	v_add_f64 v[84:85], v[16:17], v[14:15]
	v_add_f64 v[48:49], v[192:193], v[148:149]
	v_add_f64 v[24:25], v[148:149], -v[192:193]
	v_add_f64 v[128:129], v[168:169], -v[194:195]
	v_add_f64 v[102:103], v[222:223], v[198:199]
	v_add_f64 v[28:29], v[170:171], -v[116:117]
	v_add_f64 v[26:27], v[116:117], v[170:171]
	v_add_f64 v[150:151], v[198:199], -v[188:189]
	v_add_f64 v[170:171], v[188:189], -v[222:223]
	v_add_f64 v[32:33], v[90:91], v[182:183]
	v_add_f64 v[112:113], v[226:227], v[172:173]
	v_add_f64 v[106:107], v[172:173], -v[226:227]
	v_add_f64 v[116:117], v[166:167], -v[110:111]
	;; [unrolled: 1-line block ×3, first 2 shown]
	v_add_f64 v[108:109], v[110:111], v[166:167]
	v_add_f64 v[110:111], v[194:195], v[168:169]
	v_add_f64 v[90:91], v[220:221], -v[92:93]
	v_add_f64 v[148:149], v[92:93], -v[224:225]
	v_add_f64 v[166:167], v[96:97], v[86:87]
	v_add_f64 v[168:169], v[222:223], -v[198:199]
	v_add_f64 v[172:173], v[16:17], -v[14:15]
	v_add_f64 v[92:93], v[92:93], v[146:147]
	v_add_f64 v[146:147], v[96:97], -v[86:87]
	v_add_f64 v[86:87], v[86:87], -v[100:101]
	v_add_f64 v[192:193], v[44:45], -v[16:17]
	v_add_f64 v[194:195], v[100:101], -v[96:97]
	v_add_f64 v[102:103], v[188:189], v[102:103]
	v_add_f64 v[14:15], v[14:15], -v[44:45]
	v_add_f64 v[44:45], v[84:85], v[44:45]
	v_mul_f64 v[150:151], v[150:151], s[10:11]
	v_mul_f64 v[188:189], v[170:171], s[24:25]
	v_add_f64 v[220:221], v[202:203], v[22:23]
	v_add_f64 v[202:203], v[22:23], -v[202:203]
	v_mul_f64 v[84:85], v[90:91], s[10:11]
	v_mul_f64 v[90:91], v[148:149], s[24:25]
	v_add_f64 v[100:101], v[166:167], v[100:101]
	v_mul_f64 v[146:147], v[146:147], s[22:23]
	v_add_f64 v[16:17], v[156:157], v[102:103]
	v_mul_f64 v[156:157], v[172:173], s[22:23]
	v_fma_f64 v[170:171], v[170:171], s[24:25], v[150:151]
	v_fma_f64 v[172:173], v[168:169], s[6:7], -v[188:189]
	v_fma_f64 v[150:151], v[168:169], s[16:17], -v[150:151]
	v_mul_f64 v[168:169], v[86:87], s[4:5]
	v_add_f64 v[188:189], v[184:185], v[4:5]
	v_add_f64 v[4:5], v[184:185], -v[4:5]
	v_fma_f64 v[148:149], v[148:149], s[24:25], v[84:85]
	v_fma_f64 v[90:91], v[190:191], s[6:7], -v[90:91]
	v_fma_f64 v[84:85], v[190:191], s[16:17], -v[84:85]
	v_add_f64 v[190:191], v[20:21], v[204:205]
	v_fma_f64 v[86:87], v[86:87], s[4:5], -v[146:147]
	v_fma_f64 v[146:147], v[194:195], s[18:19], v[146:147]
	v_fma_f64 v[102:103], v[102:103], s[14:15], v[16:17]
	v_fma_f64 v[168:169], v[194:195], s[20:21], -v[168:169]
	v_add_f64 v[194:195], v[20:21], -v[204:205]
	v_add_f64 v[204:205], v[200:201], v[210:211]
	v_add_f64 v[200:201], v[210:211], -v[200:201]
	v_add_f64 v[210:211], v[18:19], v[206:207]
	;; [unrolled: 2-line block ×3, first 2 shown]
	v_fma_f64 v[146:147], v[100:101], s[0:1], v[146:147]
	v_add_f64 v[172:173], v[172:173], v[102:103]
	v_add_f64 v[150:151], v[150:151], v[102:103]
	;; [unrolled: 1-line block ×4, first 2 shown]
	s_waitcnt vmcnt(2)
	ds_read_b64 v[166:167], v239
	s_waitcnt vmcnt(1)
	ds_read_b64 v[198:199], v88
	s_waitcnt vmcnt(0)
	ds_read_b64 v[182:183], v89
	s_waitcnt lgkmcnt(0)
	v_add_f64 v[96:97], v[182:183], v[92:93]
	v_mul_f64 v[182:183], v[14:15], s[4:5]
	v_fma_f64 v[14:15], v[14:15], s[4:5], -v[156:157]
	v_fma_f64 v[156:157], v[192:193], s[18:19], v[156:157]
	v_fma_f64 v[92:93], v[92:93], s[14:15], v[96:97]
	v_fma_f64 v[182:183], v[192:193], s[20:21], -v[182:183]
	v_fma_f64 v[192:193], v[44:45], s[0:1], v[14:15]
	v_fma_f64 v[14:15], v[100:101], s[0:1], v[86:87]
	;; [unrolled: 1-line block ×3, first 2 shown]
	v_add_f64 v[168:169], v[186:187], v[208:209]
	v_fma_f64 v[156:157], v[44:45], s[0:1], v[156:157]
	v_add_f64 v[90:91], v[90:91], v[92:93]
	v_add_f64 v[148:149], v[148:149], v[92:93]
	v_add_f64 v[224:225], v[84:85], v[92:93]
	v_fma_f64 v[44:45], v[44:45], s[0:1], v[182:183]
	v_add_f64 v[18:19], v[86:87], v[150:151]
	v_add_f64 v[20:21], v[172:173], -v[14:15]
	v_add_f64 v[14:15], v[14:15], v[172:173]
	v_add_f64 v[84:85], v[210:211], v[168:169]
	v_add_f64 v[22:23], v[150:151], -v[86:87]
	v_add_f64 v[86:87], v[186:187], -v[208:209]
	v_add_f64 v[92:93], v[200:201], v[194:195]
	v_add_f64 v[150:151], v[188:189], -v[204:205]
	v_add_f64 v[172:173], v[204:205], -v[190:191]
	;; [unrolled: 1-line block ×3, first 2 shown]
	v_add_f64 v[186:187], v[204:205], v[222:223]
	v_add_f64 v[168:169], v[210:211], -v[168:169]
	v_add_f64 v[102:103], v[192:193], v[90:91]
	v_add_f64 v[100:101], v[90:91], -v[192:193]
	v_add_f64 v[90:91], v[190:191], -v[188:189]
	;; [unrolled: 1-line block ×6, first 2 shown]
	v_add_f64 v[84:85], v[220:221], v[84:85]
	v_add_f64 v[194:195], v[194:195], -v[4:5]
	v_add_f64 v[202:203], v[86:87], -v[202:203]
	v_add_f64 v[204:205], v[92:93], v[4:5]
	v_mul_f64 v[150:151], v[150:151], s[10:11]
	v_mul_f64 v[208:209], v[172:173], s[24:25]
	v_add_f64 v[206:207], v[206:207], -v[86:87]
	v_add_f64 v[86:87], v[184:185], v[86:87]
	v_mul_f64 v[182:183], v[182:183], s[10:11]
	v_add_f64 v[4:5], v[118:119], v[186:187]
	v_mul_f64 v[184:185], v[188:189], s[24:25]
	v_mul_f64 v[118:119], v[190:191], s[22:23]
	v_add_f64 v[92:93], v[166:167], v[84:85]
	v_mul_f64 v[166:167], v[192:193], s[22:23]
	v_fma_f64 v[172:173], v[172:173], s[24:25], v[150:151]
	v_fma_f64 v[190:191], v[90:91], s[6:7], -v[208:209]
	v_fma_f64 v[90:91], v[90:91], s[16:17], -v[150:151]
	v_mul_f64 v[150:151], v[194:195], s[4:5]
	v_fma_f64 v[188:189], v[188:189], s[24:25], v[182:183]
	v_fma_f64 v[186:187], v[186:187], s[14:15], v[4:5]
	v_fma_f64 v[184:185], v[168:169], s[6:7], -v[184:185]
	v_fma_f64 v[168:169], v[168:169], s[16:17], -v[182:183]
	v_mul_f64 v[182:183], v[206:207], s[4:5]
	v_fma_f64 v[192:193], v[194:195], s[4:5], -v[118:119]
	v_fma_f64 v[84:85], v[84:85], s[14:15], v[92:93]
	v_fma_f64 v[118:119], v[200:201], s[18:19], v[118:119]
	v_fma_f64 v[194:195], v[206:207], s[4:5], -v[166:167]
	v_fma_f64 v[166:167], v[202:203], s[18:19], v[166:167]
	v_fma_f64 v[150:151], v[200:201], s[20:21], -v[150:151]
	v_add_f64 v[200:201], v[38:39], v[212:213]
	v_add_f64 v[208:209], v[172:173], v[186:187]
	;; [unrolled: 1-line block ×6, first 2 shown]
	v_add_f64 v[38:39], v[38:39], -v[212:213]
	v_add_f64 v[6:7], v[52:53], -v[6:7]
	v_add_f64 v[52:53], v[8:9], v[40:41]
	v_add_f64 v[8:9], v[40:41], -v[8:9]
	v_add_f64 v[42:43], v[42:43], -v[180:181]
	v_fma_f64 v[182:183], v[202:203], s[20:21], -v[182:183]
	v_add_f64 v[202:203], v[10:11], v[2:3]
	v_add_f64 v[2:3], v[2:3], -v[10:11]
	v_add_f64 v[10:11], v[36:37], v[0:1]
	v_add_f64 v[210:211], v[188:189], v[84:85]
	v_add_f64 v[212:213], v[184:185], v[84:85]
	v_add_f64 v[220:221], v[168:169], v[84:85]
	v_add_f64 v[0:1], v[36:37], -v[0:1]
	v_fma_f64 v[226:227], v[204:205], s[0:1], v[118:119]
	v_fma_f64 v[240:241], v[204:205], s[0:1], v[192:193]
	;; [unrolled: 1-line block ×4, first 2 shown]
	v_add_f64 v[166:167], v[224:225], -v[44:45]
	v_add_f64 v[84:85], v[200:201], v[172:173]
	v_add_f64 v[168:169], v[200:201], -v[172:173]
	v_fma_f64 v[245:246], v[86:87], s[0:1], v[182:183]
	v_add_f64 v[172:173], v[172:173], -v[202:203]
	v_add_f64 v[40:41], v[2:3], v[38:39]
	v_add_f64 v[36:37], v[10:11], v[186:187]
	v_add_f64 v[180:181], v[202:203], -v[200:201]
	v_fma_f64 v[86:87], v[86:87], s[0:1], v[194:195]
	v_add_f64 v[182:183], v[148:149], -v[156:157]
	v_add_f64 v[188:189], v[8:9], -v[0:1]
	v_add_f64 v[150:151], v[240:241], v[212:213]
	v_add_f64 v[118:119], v[220:221], -v[242:243]
	v_add_f64 v[184:185], v[202:203], v[84:85]
	v_add_f64 v[84:85], v[10:11], -v[186:187]
	v_add_f64 v[186:187], v[186:187], -v[52:53]
	;; [unrolled: 1-line block ×3, first 2 shown]
	v_add_f64 v[36:37], v[52:53], v[36:37]
	v_add_f64 v[52:53], v[2:3], -v[38:39]
	v_add_f64 v[2:3], v[6:7], -v[2:3]
	;; [unrolled: 1-line block ×3, first 2 shown]
	v_add_f64 v[6:7], v[40:41], v[6:7]
	v_add_f64 v[40:41], v[8:9], v[0:1]
	v_add_f64 v[8:9], v[42:43], -v[8:9]
	v_add_f64 v[0:1], v[0:1], -v[42:43]
	v_mul_f64 v[52:53], v[52:53], s[22:23]
	v_add_f64 v[40:41], v[40:41], v[42:43]
	v_mul_f64 v[42:43], v[172:173], s[10:11]
	v_mul_f64 v[172:173], v[180:181], s[24:25]
	v_fma_f64 v[200:201], v[180:181], s[24:25], v[42:43]
	v_fma_f64 v[172:173], v[168:169], s[6:7], -v[172:173]
	v_fma_f64 v[42:43], v[168:169], s[16:17], -v[42:43]
	v_mul_f64 v[168:169], v[186:187], s[10:11]
	v_mul_f64 v[180:181], v[10:11], s[24:25]
	v_fma_f64 v[10:11], v[10:11], s[24:25], v[168:169]
	v_fma_f64 v[206:207], v[84:85], s[6:7], -v[180:181]
	v_fma_f64 v[168:169], v[84:85], s[16:17], -v[168:169]
	v_mul_f64 v[84:85], v[38:39], s[4:5]
	v_fma_f64 v[38:39], v[38:39], s[4:5], -v[52:53]
	v_fma_f64 v[52:53], v[2:3], s[18:19], v[52:53]
	v_mul_f64 v[180:181], v[0:1], s[4:5]
	v_fma_f64 v[2:3], v[2:3], s[20:21], -v[84:85]
	v_mul_f64 v[84:85], v[188:189], s[22:23]
	v_fma_f64 v[194:195], v[6:7], s[0:1], v[2:3]
	v_fma_f64 v[188:189], v[0:1], s[4:5], -v[84:85]
	s_clause 0x1
	buffer_load_dword v0, off, s[28:31], 0 offset:100
	buffer_load_dword v1, off, s[28:31], 0 offset:104
	v_fma_f64 v[222:223], v[8:9], s[18:19], v[84:85]
	v_add_f64 v[84:85], v[198:199], v[36:37]
	v_fma_f64 v[8:9], v[8:9], s[20:21], -v[180:181]
	v_fma_f64 v[198:199], v[6:7], s[0:1], v[52:53]
	v_add_f64 v[52:53], v[232:233], v[208:209]
	v_add_f64 v[180:181], v[146:147], v[170:171]
	v_fma_f64 v[2:3], v[40:41], s[0:1], v[188:189]
	v_fma_f64 v[36:37], v[36:37], s[14:15], v[84:85]
	;; [unrolled: 1-line block ×3, first 2 shown]
	v_add_f64 v[186:187], v[10:11], v[36:37]
	v_add_f64 v[192:193], v[168:169], v[36:37]
	;; [unrolled: 1-line block ×3, first 2 shown]
	v_fma_f64 v[206:207], v[6:7], s[0:1], v[38:39]
	v_add_f64 v[168:169], v[44:45], v[224:225]
	v_add_f64 v[38:39], v[245:246], v[90:91]
	v_add_f64 v[44:45], v[190:191], -v[86:87]
	v_add_f64 v[36:37], v[86:87], v[190:191]
	v_mov_b32_e32 v225, 0x4e5f
	v_add_f64 v[86:87], v[192:193], -v[194:195]
	v_add_f64 v[194:195], v[194:195], v[192:193]
	v_add_f64 v[192:193], v[198:199], v[186:187]
	v_add_f64 v[190:191], v[206:207], v[188:189]
	v_add_f64 v[188:189], v[188:189], -v[206:207]
	s_waitcnt vmcnt(0)
	v_add_f64 v[0:1], v[0:1], v[184:185]
	v_fma_f64 v[114:115], v[184:185], s[14:15], v[0:1]
	v_add_f64 v[202:203], v[42:43], v[114:115]
	v_add_f64 v[42:43], v[90:91], -v[245:246]
	v_add_f64 v[90:91], v[186:187], -v[198:199]
	v_add_f64 v[184:185], v[200:201], v[114:115]
	v_fma_f64 v[200:201], v[40:41], s[0:1], v[222:223]
	v_add_f64 v[40:41], v[208:209], -v[232:233]
	v_mov_b32_e32 v208, 0x188
	v_mov_b32_e32 v209, 3
	v_add_f64 v[247:248], v[172:173], v[114:115]
	v_add_f64 v[172:173], v[170:171], -v[146:147]
	v_add_f64 v[170:171], v[156:157], v[148:149]
	v_add_f64 v[148:149], v[242:243], v[220:221]
	v_lshlrev_b32_sdwa v196, v209, v196 dst_sel:DWORD dst_unused:UNUSED_PAD src0_sel:DWORD src1_sel:BYTE_0
	v_lshlrev_b32_sdwa v187, v209, v255 dst_sel:DWORD dst_unused:UNUSED_PAD src0_sel:DWORD src1_sel:BYTE_0
	v_add_f64 v[156:157], v[210:211], -v[226:227]
	v_add_f64 v[146:147], v[226:227], v[210:211]
	v_mov_b32_e32 v255, v251
	v_add_f64 v[114:115], v[212:213], -v[240:241]
	v_mov_b32_e32 v227, v244
	v_add_f64 v[6:7], v[204:205], v[202:203]
	v_add_f64 v[202:203], v[202:203], -v[204:205]
	buffer_load_dword v204, off, s[28:31], 0 offset:60 ; 4-byte Folded Reload
	s_waitcnt vmcnt(0)
	s_waitcnt_vscnt null, 0x0
	buffer_load_dword v186, off, s[28:31], 0 offset:72 ; 4-byte Folded Reload
	s_barrier
	s_waitcnt vmcnt(0)
	buffer_gl0_inv
	v_add_f64 v[10:11], v[200:201], v[184:185]
	v_add_f64 v[184:185], v[184:185], -v[200:201]
	v_add_f64 v[8:9], v[247:248], -v[2:3]
	v_add_f64 v[2:3], v[2:3], v[247:248]
	v_mul_u32_u24_sdwa v204, v204, v208 dst_sel:DWORD dst_unused:UNUSED_PAD src0_sel:WORD_0 src1_sel:DWORD
	v_mul_u32_u24_sdwa v186, v186, v208 dst_sel:DWORD dst_unused:UNUSED_PAD src0_sel:WORD_0 src1_sel:DWORD
	v_add3_u32 v198, 0, v204, v196
	ds_write2_b64 v198, v[54:55], v[178:179] offset1:7
	ds_write2_b64 v198, v[74:75], v[76:77] offset0:14 offset1:21
	v_add3_u32 v199, 0, v186, v187
	ds_write2_b64 v198, v[64:65], v[66:67] offset0:28 offset1:35
	ds_write_b64 v198, v[72:73] offset:336
	ds_write2_b64 v199, v[46:47], v[176:177] offset1:7
	ds_write2_b64 v199, v[70:71], v[56:57] offset0:14 offset1:21
	buffer_load_dword v46, off, s[28:31], 0 offset:68 ; 4-byte Folded Reload
	v_mul_u32_u24_sdwa v54, v197, v208 dst_sel:DWORD dst_unused:UNUSED_PAD src0_sel:WORD_0 src1_sel:DWORD
	v_lshlrev_b32_sdwa v55, v209, v254 dst_sel:DWORD dst_unused:UNUSED_PAD src0_sel:DWORD src1_sel:BYTE_0
	v_lshlrev_b32_sdwa v47, v209, v253 dst_sel:DWORD dst_unused:UNUSED_PAD src0_sel:DWORD src1_sel:BYTE_0
	v_add3_u32 v197, 0, v54, v55
	ds_write2_b64 v199, v[50:51], v[58:59] offset0:28 offset1:35
	ds_write_b64 v199, v[60:61] offset:336
	ds_write2_b64 v197, v[34:35], v[174:175] offset1:7
	ds_write2_b64 v197, v[82:83], v[68:69] offset0:14 offset1:21
	buffer_load_dword v34, off, s[28:31], 0 offset:80 ; 4-byte Folded Reload
	v_lshlrev_b32_sdwa v35, v209, v236 dst_sel:DWORD dst_unused:UNUSED_PAD src0_sel:DWORD src1_sel:BYTE_0
	v_mov_b32_e32 v236, v89
	s_waitcnt vmcnt(1)
	v_mul_u32_u24_sdwa v46, v46, v208 dst_sel:DWORD dst_unused:UNUSED_PAD src0_sel:WORD_0 src1_sel:DWORD
	v_add3_u32 v200, 0, v46, v47
	ds_write2_b64 v197, v[62:63], v[80:81] offset0:28 offset1:35
	ds_write_b64 v197, v[78:79] offset:336
	ds_write2_b64 v200, v[12:13], v[48:49] offset1:7
	ds_write2_b64 v200, v[32:33], v[28:29] offset0:14 offset1:21
	buffer_load_dword v12, off, s[28:31], 0 offset:76 ; 4-byte Folded Reload
	v_lshlrev_b32_sdwa v13, v209, v238 dst_sel:DWORD dst_unused:UNUSED_PAD src0_sel:DWORD src1_sel:WORD_0
	s_waitcnt vmcnt(1)
	v_mul_u32_u24_sdwa v34, v34, v208 dst_sel:DWORD dst_unused:UNUSED_PAD src0_sel:WORD_0 src1_sel:DWORD
	ds_write2_b64 v200, v[26:27], v[30:31] offset0:28 offset1:35
	v_add3_u32 v204, 0, v34, v35
	ds_write_b64 v200, v[24:25] offset:336
	ds_write2_b64 v204, v[16:17], v[180:181] offset1:7
	v_mul_u32_u24_sdwa v16, v235, v208 dst_sel:DWORD dst_unused:UNUSED_PAD src0_sel:WORD_0 src1_sel:DWORD
	v_lshlrev_b32_sdwa v17, v209, v234 dst_sel:DWORD dst_unused:UNUSED_PAD src0_sel:DWORD src1_sel:WORD_0
	ds_write2_b64 v204, v[18:19], v[20:21] offset0:14 offset1:21
	ds_write2_b64 v204, v[14:15], v[22:23] offset0:28 offset1:35
	ds_write_b64 v204, v[172:173] offset:336
	v_add3_u32 v196, 0, v16, v17
	s_waitcnt vmcnt(0)
	v_mul_u32_u24_sdwa v12, v12, v208 dst_sel:DWORD dst_unused:UNUSED_PAD src0_sel:WORD_0 src1_sel:DWORD
	v_add3_u32 v201, 0, v12, v13
	ds_write2_b64 v201, v[4:5], v[52:53] offset1:7
	ds_write2_b64 v201, v[38:39], v[44:45] offset0:14 offset1:21
	ds_write2_b64 v201, v[36:37], v[42:43] offset0:28 offset1:35
	ds_write_b64 v201, v[40:41] offset:336
	ds_write2_b64 v196, v[0:1], v[10:11] offset1:7
	ds_write2_b64 v196, v[6:7], v[8:9] offset0:14 offset1:21
	ds_write2_b64 v196, v[2:3], v[202:203] offset0:28 offset1:35
	ds_write_b64 v196, v[184:185] offset:336
	s_waitcnt lgkmcnt(0)
	s_barrier
	buffer_gl0_inv
	ds_read2_b64 v[80:83], v237 offset0:87 offset1:136
	ds_read2_b64 v[24:27], v229 offset0:125 offset1:174
	ds_read2_b64 v[76:79], v214 offset0:5 offset1:54
	ds_read2_b64 v[8:11], v244 offset0:43 offset1:92
	s_clause 0x2
	buffer_load_dword v215, off, s[28:31], 0 offset:96
	buffer_load_dword v253, off, s[28:31], 0 offset:92
	;; [unrolled: 1-line block ×3, first 2 shown]
	s_waitcnt vmcnt(2)
	ds_read2_b64 v[72:75], v215 offset0:179 offset1:228
	s_waitcnt vmcnt(1)
	ds_read2_b64 v[0:3], v253 offset0:89 offset1:138
	;; [unrolled: 2-line block ×3, first 2 shown]
	ds_read2_b64 v[20:23], v244 offset0:141 offset1:190
	buffer_load_dword v216, off, s[28:31], 0 offset:84 ; 4-byte Folded Reload
	v_mov_b32_e32 v244, v228
	v_mov_b32_e32 v228, v219
	;; [unrolled: 1-line block ×3, first 2 shown]
	s_waitcnt vmcnt(0)
	ds_read2_b64 v[16:19], v216 offset0:59 offset1:108
	ds_read2_b64 v[68:71], v237 offset0:185 offset1:234
	;; [unrolled: 1-line block ×3, first 2 shown]
	buffer_load_dword v252, off, s[28:31], 0 offset:16 ; 4-byte Folded Reload
	v_mov_b32_e32 v232, v216
	s_waitcnt vmcnt(0)
	ds_read2_b64 v[56:59], v252 offset0:21 offset1:70
	ds_read_b64 v[186:187], v218
	s_clause 0x1
	buffer_load_dword v238, off, s[28:31], 0 offset:20
	buffer_load_dword v254, off, s[28:31], 0 offset:24
	v_mov_b32_e32 v233, v252
	s_waitcnt vmcnt(1)
	ds_read_b64 v[184:185], v238
	s_waitcnt vmcnt(0)
	ds_read_b64 v[180:181], v254
	ds_read_b64 v[178:179], v251
	ds_read2_b64 v[60:63], v250 offset0:65 offset1:114
	buffer_load_dword v226, off, s[28:31], 0 offset:8 ; 4-byte Folded Reload
	s_waitcnt vmcnt(0)
	ds_read2_b64 v[52:55], v226 offset0:111 offset1:160
	ds_read2_b64 v[48:51], v216 offset0:157 offset1:206
	ds_read2_b64 v[44:47], v229 offset0:27 offset1:76
	ds_read2_b64 v[40:43], v214 offset0:201 offset1:250
	ds_read2_b64 v[36:39], v252 offset0:119 offset1:168
	ds_read2_b64 v[28:31], v250 offset0:163 offset1:212
	ds_read2_b64 v[12:15], v215 offset0:81 offset1:130
	buffer_load_dword v251, off, s[28:31], 0 offset:88 ; 4-byte Folded Reload
	v_mov_b32_e32 v252, v215
	s_waitcnt vmcnt(0)
	ds_read2_b64 v[4:7], v251 offset0:127 offset1:176
	ds_read_b64 v[176:177], v89
	ds_read_b64 v[174:175], v239
	;; [unrolled: 1-line block ×3, first 2 shown]
	s_waitcnt lgkmcnt(0)
	s_barrier
	buffer_gl0_inv
	ds_write2_b64 v198, v[98:99], v[152:153] offset1:7
	ds_write2_b64 v198, v[136:137], v[124:125] offset0:14 offset1:21
	ds_write2_b64 v198, v[126:127], v[130:131] offset0:28 offset1:35
	ds_write_b64 v198, v[140:141] offset:336
	ds_write2_b64 v199, v[94:95], v[154:155] offset1:7
	ds_write2_b64 v199, v[138:139], v[122:123] offset0:14 offset1:21
	s_clause 0x1
	buffer_load_dword v88, off, s[28:31], 0 offset:108
	buffer_load_dword v89, off, s[28:31], 0 offset:112
	s_waitcnt vmcnt(0)
	ds_write2_b64 v199, v[88:89], v[132:133] offset0:28 offset1:35
	ds_write_b64 v199, v[134:135] offset:336
	ds_write2_b64 v197, v[104:105], v[164:165] offset1:7
	ds_write2_b64 v197, v[162:163], v[144:145] offset0:14 offset1:21
	ds_write2_b64 v197, v[142:143], v[160:161] offset0:28 offset1:35
	ds_write_b64 v197, v[158:159] offset:336
	ds_write2_b64 v200, v[120:121], v[128:129] offset1:7
	ds_write2_b64 v200, v[116:117], v[112:113] offset0:14 offset1:21
	;; [unrolled: 4-line block ×5, first 2 shown]
	ds_write2_b64 v196, v[188:189], v[194:195] offset0:28 offset1:35
	ds_write_b64 v196, v[192:193] offset:336
	buffer_load_dword v84, off, s[28:31], 0 offset:52 ; 4-byte Folded Reload
	s_waitcnt vmcnt(0) lgkmcnt(0)
	s_barrier
	buffer_gl0_inv
	v_mul_u32_u24_e32 v88, 6, v231
	buffer_store_dword v217, off, s[28:31], 0 offset:60 ; 4-byte Folded Spill
	v_lshlrev_b32_e32 v239, 4, v88
	s_clause 0x2
	global_load_dwordx4 v[168:171], v239, s[8:9] offset:672
	global_load_dwordx4 v[164:167], v239, s[8:9] offset:704
	;; [unrolled: 1-line block ×3, first 2 shown]
	v_mul_lo_u16 v84, 0x4f, v84
	v_lshrrev_b16 v84, 8, v84
	v_sub_nc_u16 v85, v230, v84
	v_lshrrev_b16 v85, 1, v85
	v_and_b32_e32 v85, 0x7f, v85
	v_add_nc_u16 v84, v85, v84
	buffer_load_dword v85, off, s[28:31], 0 offset:44 ; 4-byte Folded Reload
	v_lshrrev_b16 v84, 5, v84
	v_mul_lo_u16 v84, v84, 49
	v_sub_nc_u16 v84, v230, v84
	v_and_b32_e32 v197, 0xff, v84
	s_waitcnt vmcnt(0)
	v_mul_lo_u16 v85, 0x4f, v85
	v_lshrrev_b16 v85, 8, v85
	v_sub_nc_u16 v86, v217, v85
	v_lshrrev_b16 v86, 1, v86
	v_and_b32_e32 v84, 0x7f, v86
	v_mul_u32_u24_e32 v86, 6, v197
	v_lshl_add_u32 v197, v197, 3, 0
	v_add_nc_u16 v84, v84, v85
	buffer_load_dword v85, off, s[28:31], 0 offset:40 ; 4-byte Folded Reload
	v_lshlrev_b32_e32 v195, 4, v86
	v_lshrrev_b16 v84, 5, v84
	s_clause 0x2
	global_load_dwordx4 v[160:163], v195, s[8:9] offset:672
	global_load_dwordx4 v[152:155], v195, s[8:9] offset:704
	;; [unrolled: 1-line block ×3, first 2 shown]
	v_mul_lo_u16 v84, v84, 49
	v_mul_f64 v[192:193], v[80:81], v[170:171]
	v_sub_nc_u16 v84, v217, v84
	v_mul_f64 v[216:217], v[78:79], v[166:167]
	v_and_b32_e32 v84, 0xff, v84
	buffer_store_dword v84, off, s[28:31], 0 offset:52 ; 4-byte Folded Spill
	v_mul_u32_u24_e32 v84, 6, v84
	v_lshlrev_b32_e32 v84, 4, v84
	s_clause 0x3
	global_load_dwordx4 v[156:159], v84, s[8:9] offset:672
	global_load_dwordx4 v[128:131], v84, s[8:9] offset:688
	global_load_dwordx4 v[140:143], v84, s[8:9] offset:704
	global_load_dwordx4 v[132:135], v84, s[8:9] offset:736
	s_waitcnt vmcnt(7)
	v_mul_lo_u16 v85, 0x4f, v85
	v_lshrrev_b16 v85, 8, v85
	v_sub_nc_u16 v86, v244, v85
	v_lshrrev_b16 v86, 1, v86
	v_and_b32_e32 v86, 0x7f, v86
	v_add_nc_u16 v85, v86, v85
	v_mul_u32_u24_sdwa v86, v249, v225 dst_sel:DWORD dst_unused:UNUSED_PAD src0_sel:WORD_0 src1_sel:DWORD
	v_lshrrev_b16 v85, 5, v85
	v_lshrrev_b32_e32 v86, 16, v86
	v_mul_lo_u16 v85, v85, 49
	v_sub_nc_u16 v87, v249, v86
	v_sub_nc_u16 v85, v244, v85
	v_and_b32_e32 v85, 0xff, v85
	buffer_store_dword v85, off, s[28:31], 0 offset:44 ; 4-byte Folded Spill
	v_mul_u32_u24_e32 v85, 6, v85
	v_lshlrev_b32_e32 v85, 4, v85
	s_clause 0x4
	global_load_dwordx4 v[124:127], v85, s[8:9] offset:688
	global_load_dwordx4 v[120:123], v84, s[8:9] offset:720
	;; [unrolled: 1-line block ×5, first 2 shown]
	v_lshrrev_b16 v84, 1, v87
	global_load_dwordx4 v[104:107], v85, s[8:9] offset:752
	buffer_store_dword v249, off, s[28:31], 0 offset:68 ; 4-byte Folded Spill
	v_add_nc_u16 v84, v84, v86
	v_lshrrev_b16 v84, 5, v84
	v_mul_lo_u16 v84, v84, 49
	v_sub_nc_u16 v84, v249, v84
	v_mov_b32_e32 v249, v227
	v_and_b32_e32 v84, 0xffff, v84
	buffer_store_dword v84, off, s[28:31], 0 offset:40 ; 4-byte Folded Spill
	v_mul_u32_u24_e32 v84, 6, v84
	v_lshlrev_b32_e32 v194, 4, v84
	s_clause 0x4
	global_load_dwordx4 v[100:103], v194, s[8:9] offset:672
	global_load_dwordx4 v[96:99], v85, s[8:9] offset:704
	;; [unrolled: 1-line block ×5, first 2 shown]
	ds_read2_b64 v[198:201], v237 offset0:87 offset1:136
	ds_read2_b64 v[202:205], v214 offset0:5 offset1:54
	;; [unrolled: 1-line block ×3, first 2 shown]
	v_mul_f64 v[214:215], v[76:77], v[166:167]
	global_load_dwordx4 v[136:139], v239, s[8:9] offset:688
	s_waitcnt lgkmcnt(2)
	v_mul_f64 v[182:183], v[198:199], v[170:171]
	v_mul_f64 v[188:189], v[200:201], v[170:171]
	;; [unrolled: 1-line block ×3, first 2 shown]
	s_waitcnt lgkmcnt(1)
	v_mul_f64 v[206:207], v[202:203], v[166:167]
	v_mul_f64 v[212:213], v[204:205], v[166:167]
	v_fma_f64 v[210:211], v[198:199], v[168:169], v[192:193]
	v_fma_f64 v[208:209], v[80:81], v[168:169], -v[182:183]
	v_fma_f64 v[190:191], v[82:83], v[168:169], -v[188:189]
	global_load_dwordx4 v[80:83], v195, s[8:9] offset:688
	v_fma_f64 v[198:199], v[200:201], v[168:169], v[170:171]
	v_mul_u32_u24_sdwa v170, v228, v225 dst_sel:DWORD dst_unused:UNUSED_PAD src0_sel:WORD_0 src1_sel:DWORD
	v_fma_f64 v[192:193], v[76:77], v[164:165], -v[206:207]
	s_waitcnt lgkmcnt(0)
	v_mul_f64 v[76:77], v[221:222], v[150:151]
	v_fma_f64 v[200:201], v[78:79], v[164:165], -v[212:213]
	v_fma_f64 v[212:213], v[202:203], v[164:165], v[214:215]
	v_lshrrev_b32_e32 v182, 16, v170
	v_fma_f64 v[202:203], v[204:205], v[164:165], v[216:217]
	v_mul_f64 v[78:79], v[223:224], v[150:151]
	ds_read2_b64 v[166:169], v237 offset0:185 offset1:234
	ds_read2_b64 v[240:243], v219 offset0:103 offset1:152
	v_mul_f64 v[170:171], v[72:73], v[150:151]
	v_sub_nc_u16 v164, v228, v182
	v_mul_f64 v[150:151], v[74:75], v[150:151]
	ds_read2_b64 v[245:248], v250 offset0:65 offset1:114
	v_lshrrev_b16 v164, 1, v164
	v_add_nc_u16 v182, v164, v182
	v_fma_f64 v[216:217], v[72:73], v[148:149], -v[76:77]
	v_lshrrev_b16 v182, 5, v182
	s_waitcnt vmcnt(19) lgkmcnt(2)
	v_mul_f64 v[164:165], v[166:167], v[162:163]
	s_waitcnt vmcnt(18) lgkmcnt(1)
	v_mul_f64 v[72:73], v[240:241], v[154:155]
	v_fma_f64 v[206:207], v[74:75], v[148:149], -v[78:79]
	v_mul_lo_u16 v76, v182, 49
	v_mul_f64 v[74:75], v[64:65], v[154:155]
	v_fma_f64 v[214:215], v[221:222], v[148:149], v[170:171]
	v_mul_f64 v[162:163], v[68:69], v[162:163]
	v_fma_f64 v[204:205], v[223:224], v[148:149], v[150:151]
	v_sub_nc_u16 v76, v228, v76
	ds_read2_b64 v[222:225], v233 offset0:21 offset1:70
	s_waitcnt vmcnt(14)
	v_mul_f64 v[150:151], v[242:243], v[142:143]
	v_and_b32_e32 v221, 0xffff, v76
	v_mul_f64 v[76:77], v[70:71], v[158:159]
	v_mul_u32_u24_e32 v78, 6, v221
	v_lshl_add_u32 v196, v221, 3, 0
	v_fma_f64 v[154:155], v[68:69], v[160:161], -v[164:165]
	v_lshlrev_b32_e32 v234, 4, v78
	v_mul_f64 v[68:69], v[168:169], v[158:159]
	v_fma_f64 v[158:159], v[64:65], v[152:153], -v[72:73]
	v_fma_f64 v[152:153], v[240:241], v[152:153], v[74:75]
	v_mul_f64 v[78:79], v[56:57], v[146:147]
	global_load_dwordx4 v[72:75], v234, s[8:9] offset:672
	s_waitcnt lgkmcnt(0)
	v_mul_f64 v[64:65], v[222:223], v[146:147]
	v_fma_f64 v[160:161], v[166:167], v[160:161], v[162:163]
	v_mul_f64 v[166:167], v[245:246], v[130:131]
	v_mul_f64 v[130:131], v[60:61], v[130:131]
	v_fma_f64 v[148:149], v[168:169], v[156:157], v[76:77]
	v_mul_f64 v[76:77], v[66:67], v[142:143]
	v_fma_f64 v[146:147], v[70:71], v[156:157], -v[68:69]
	global_load_dwordx4 v[68:71], v194, s[8:9] offset:688
	v_fma_f64 v[156:157], v[222:223], v[144:145], v[78:79]
	v_fma_f64 v[162:163], v[56:57], v[144:145], -v[64:65]
	s_waitcnt vmcnt(15)
	v_mul_f64 v[56:57], v[224:225], v[134:135]
	v_mul_f64 v[134:135], v[58:59], v[134:135]
	v_fma_f64 v[144:145], v[66:67], v[140:141], -v[150:151]
	global_load_dwordx4 v[64:67], v234, s[8:9] offset:688
	v_fma_f64 v[166:167], v[60:61], v[128:129], -v[166:167]
	v_fma_f64 v[182:183], v[245:246], v[128:129], v[130:131]
	v_fma_f64 v[150:151], v[242:243], v[140:141], v[76:77]
	global_load_dwordx4 v[76:79], v239, s[8:9] offset:720
	ds_read2_b64 v[140:143], v226 offset0:111 offset1:160
	v_fma_f64 v[164:165], v[58:59], v[132:133], -v[56:57]
	global_load_dwordx4 v[56:59], v195, s[8:9] offset:720
	v_fma_f64 v[170:171], v[224:225], v[132:133], v[134:135]
	s_waitcnt vmcnt(17)
	v_mul_f64 v[132:133], v[247:248], v[126:127]
	v_mul_f64 v[126:127], v[62:63], v[126:127]
	s_waitcnt vmcnt(16) lgkmcnt(0)
	v_mul_f64 v[60:61], v[140:141], v[122:123]
	s_waitcnt vmcnt(15)
	v_mul_f64 v[222:223], v[142:143], v[118:119]
	v_mul_f64 v[118:119], v[54:55], v[118:119]
	;; [unrolled: 1-line block ×3, first 2 shown]
	v_fma_f64 v[122:123], v[62:63], v[124:125], -v[132:133]
	v_fma_f64 v[124:125], v[247:248], v[124:125], v[126:127]
	ds_read2_b64 v[126:129], v232 offset0:157 offset1:206
	ds_read2_b64 v[130:133], v229 offset0:27 offset1:76
	v_fma_f64 v[168:169], v[52:53], v[120:121], -v[60:61]
	global_load_dwordx4 v[60:63], v239, s[8:9] offset:752
	v_fma_f64 v[52:53], v[54:55], v[116:117], -v[222:223]
	global_load_dwordx4 v[222:225], v195, s[8:9] offset:752
	v_fma_f64 v[54:55], v[142:143], v[116:117], v[118:119]
	s_waitcnt vmcnt(16)
	v_mul_f64 v[116:117], v[48:49], v[110:111]
	v_fma_f64 v[188:189], v[140:141], v[120:121], v[134:135]
	s_waitcnt vmcnt(15)
	v_mul_f64 v[134:135], v[44:45], v[114:115]
	ds_read2_b64 v[240:243], v233 offset0:119 offset1:168
	v_mov_b32_e32 v247, v232
	v_mov_b32_e32 v248, v255
	s_waitcnt lgkmcnt(2)
	v_mul_f64 v[120:121], v[126:127], v[110:111]
	s_waitcnt lgkmcnt(1)
	v_mul_f64 v[118:119], v[130:131], v[114:115]
	s_waitcnt vmcnt(14)
	v_mul_f64 v[140:141], v[128:129], v[106:107]
	v_fma_f64 v[114:115], v[126:127], v[108:109], v[116:117]
	v_mul_f64 v[126:127], v[50:51], v[106:107]
	v_fma_f64 v[110:111], v[48:49], v[108:109], -v[120:121]
	v_fma_f64 v[48:49], v[44:45], v[112:113], -v[118:119]
	v_fma_f64 v[44:45], v[130:131], v[112:113], v[134:135]
	s_waitcnt vmcnt(13)
	v_mul_f64 v[112:113], v[132:133], v[102:103]
	v_fma_f64 v[120:121], v[50:51], v[104:105], -v[140:141]
	global_load_dwordx4 v[116:119], v194, s[8:9] offset:720
	v_mul_f64 v[50:51], v[46:47], v[102:103]
	ds_read2_b64 v[106:109], v219 offset0:201 offset1:250
	v_fma_f64 v[126:127], v[128:129], v[104:105], v[126:127]
	global_load_dwordx4 v[102:105], v234, s[8:9] offset:704
	v_fma_f64 v[46:47], v[46:47], v[100:101], -v[112:113]
	s_waitcnt vmcnt(14)
	v_mul_f64 v[112:113], v[40:41], v[98:99]
	s_waitcnt lgkmcnt(0)
	v_mul_f64 v[128:129], v[106:107], v[98:99]
	v_fma_f64 v[50:51], v[132:133], v[100:101], v[50:51]
	global_load_dwordx4 v[98:101], v234, s[8:9] offset:720
	s_waitcnt vmcnt(14)
	v_mul_f64 v[130:131], v[108:109], v[94:95]
	v_fma_f64 v[134:135], v[106:107], v[96:97], v[112:113]
	v_fma_f64 v[132:133], v[40:41], v[96:97], -v[128:129]
	v_mul_f64 v[40:41], v[42:43], v[94:95]
	global_load_dwordx4 v[94:97], v194, s[8:9] offset:752
	v_fma_f64 v[128:129], v[42:43], v[92:93], -v[130:131]
	s_waitcnt vmcnt(14)
	v_mul_f64 v[106:107], v[240:241], v[90:91]
	v_mul_f64 v[112:113], v[36:37], v[90:91]
	v_fma_f64 v[130:131], v[108:109], v[92:93], v[40:41]
	s_clause 0x1
	global_load_dwordx4 v[90:93], v234, s[8:9] offset:736
	global_load_dwordx4 v[40:43], v234, s[8:9] offset:752
	ds_read2_b64 v[232:235], v229 offset0:125 offset1:174
	v_fma_f64 v[140:141], v[36:37], v[88:89], -v[106:107]
	s_waitcnt vmcnt(15)
	v_mul_f64 v[36:37], v[242:243], v[86:87]
	v_mul_f64 v[86:87], v[38:39], v[86:87]
	ds_read2_b64 v[106:109], v220 offset0:95 offset1:144
	v_fma_f64 v[142:143], v[240:241], v[88:89], v[112:113]
	v_mov_b32_e32 v220, v251
	v_fma_f64 v[36:37], v[38:39], v[84:85], -v[36:37]
	v_fma_f64 v[38:39], v[242:243], v[84:85], v[86:87]
	s_waitcnt vmcnt(14) lgkmcnt(0)
	v_mul_f64 v[84:85], v[106:107], v[138:139]
	s_waitcnt vmcnt(13)
	v_mul_f64 v[88:89], v[108:109], v[82:83]
	v_mul_f64 v[82:83], v[34:35], v[82:83]
	v_fma_f64 v[86:87], v[32:33], v[136:137], -v[84:85]
	v_mul_f64 v[84:85], v[32:33], v[138:139]
	v_fma_f64 v[32:33], v[34:35], v[80:81], -v[88:89]
	v_fma_f64 v[82:83], v[108:109], v[80:81], v[82:83]
	v_mul_f64 v[80:81], v[234:235], v[138:139]
	v_mul_f64 v[88:89], v[26:27], v[138:139]
	s_waitcnt vmcnt(10)
	v_mul_f64 v[138:139], v[30:31], v[66:67]
	v_fma_f64 v[34:35], v[106:107], v[136:137], v[84:85]
	v_mul_f64 v[84:85], v[232:233], v[74:75]
	ds_read2_b64 v[106:109], v250 offset0:163 offset1:212
	v_fma_f64 v[112:113], v[26:27], v[136:137], -v[80:81]
	v_mul_f64 v[26:27], v[24:25], v[74:75]
	v_fma_f64 v[88:89], v[234:235], v[136:137], v[88:89]
	s_waitcnt lgkmcnt(0)
	v_mul_f64 v[80:81], v[106:107], v[70:71]
	v_fma_f64 v[74:75], v[24:25], v[72:73], -v[84:85]
	v_mul_f64 v[84:85], v[28:29], v[70:71]
	v_mul_f64 v[136:137], v[108:109], v[66:67]
	v_fma_f64 v[70:71], v[232:233], v[72:73], v[26:27]
	ds_read2_b64 v[24:27], v227 offset0:141 offset1:190
	v_fma_f64 v[72:73], v[28:29], v[68:69], -v[80:81]
	v_fma_f64 v[68:69], v[106:107], v[68:69], v[84:85]
	s_waitcnt vmcnt(9) lgkmcnt(0)
	v_mul_f64 v[80:81], v[24:25], v[78:79]
	s_waitcnt vmcnt(8)
	v_mul_f64 v[84:85], v[26:27], v[58:59]
	v_mul_f64 v[58:59], v[22:23], v[58:59]
	v_fma_f64 v[66:67], v[30:31], v[64:65], -v[136:137]
	ds_read2_b64 v[28:31], v227 offset0:43 offset1:92
	v_fma_f64 v[64:65], v[108:109], v[64:65], v[138:139]
	ds_read2_b64 v[106:109], v247 offset0:59 offset1:108
	v_fma_f64 v[136:137], v[20:21], v[76:77], -v[80:81]
	v_mul_f64 v[80:81], v[20:21], v[78:79]
	v_fma_f64 v[20:21], v[22:23], v[56:57], -v[84:85]
	s_waitcnt lgkmcnt(1)
	v_mul_f64 v[84:85], v[30:31], v[78:79]
	v_fma_f64 v[22:23], v[26:27], v[56:57], v[58:59]
	v_mul_f64 v[78:79], v[10:11], v[78:79]
	v_fma_f64 v[226:227], v[24:25], v[76:77], v[80:81]
	ds_read2_b64 v[24:27], v253 offset0:89 offset1:138
	v_fma_f64 v[84:85], v[10:11], v[76:77], -v[84:85]
	v_fma_f64 v[30:31], v[30:31], v[76:77], v[78:79]
	ds_read2_b64 v[78:81], v252 offset0:81 offset1:130
	s_waitcnt vmcnt(7) lgkmcnt(2)
	v_mul_f64 v[56:57], v[106:107], v[62:63]
	s_waitcnt vmcnt(6)
	v_mul_f64 v[58:59], v[108:109], v[224:225]
	v_mul_f64 v[138:139], v[18:19], v[224:225]
	v_fma_f64 v[224:225], v[16:17], v[60:61], -v[56:57]
	v_mul_f64 v[56:57], v[16:17], v[62:63]
	v_fma_f64 v[10:11], v[18:19], v[222:223], -v[58:59]
	s_waitcnt lgkmcnt(1)
	v_mul_f64 v[18:19], v[26:27], v[62:63]
	v_mul_f64 v[58:59], v[2:3], v[62:63]
	v_fma_f64 v[16:17], v[108:109], v[222:223], v[138:139]
	s_waitcnt vmcnt(5)
	v_mul_f64 v[62:63], v[12:13], v[118:119]
	v_fma_f64 v[108:109], v[106:107], v[60:61], v[56:57]
	s_waitcnt lgkmcnt(0)
	v_mul_f64 v[56:57], v[78:79], v[118:119]
	v_fma_f64 v[2:3], v[2:3], v[60:61], -v[18:19]
	v_fma_f64 v[18:19], v[26:27], v[60:61], v[58:59]
	s_waitcnt vmcnt(4)
	v_mul_f64 v[26:27], v[28:29], v[104:105]
	v_fma_f64 v[62:63], v[78:79], v[116:117], v[62:63]
	v_fma_f64 v[76:77], v[12:13], v[116:117], -v[56:57]
	v_mul_f64 v[12:13], v[8:9], v[104:105]
	ds_read2_b64 v[104:107], v251 offset0:127 offset1:176
	v_mov_b32_e32 v251, v254
	v_fma_f64 v[56:57], v[8:9], v[102:103], -v[26:27]
	s_waitcnt vmcnt(3)
	v_mul_f64 v[8:9], v[80:81], v[100:101]
	v_mul_f64 v[26:27], v[14:15], v[100:101]
	v_add_f64 v[100:101], v[88:89], v[214:215]
	v_add_f64 v[116:117], v[34:35], v[204:205]
	v_add_f64 v[34:35], v[34:35], -v[204:205]
	v_fma_f64 v[58:59], v[28:29], v[102:103], v[12:13]
	s_waitcnt vmcnt(2) lgkmcnt(0)
	v_mul_f64 v[12:13], v[104:105], v[96:97]
	v_mul_f64 v[28:29], v[4:5], v[96:97]
	v_add_f64 v[96:97], v[112:113], v[216:217]
	v_fma_f64 v[60:61], v[14:15], v[98:99], -v[8:9]
	v_add_f64 v[8:9], v[208:209], v[2:3]
	v_fma_f64 v[78:79], v[80:81], v[98:99], v[26:27]
	v_add_f64 v[14:15], v[210:211], v[18:19]
	v_add_f64 v[18:19], v[210:211], -v[18:19]
	v_add_f64 v[2:3], v[208:209], -v[2:3]
	s_waitcnt vmcnt(1)
	v_mul_f64 v[26:27], v[24:25], v[92:93]
	v_mul_f64 v[92:93], v[0:1], v[92:93]
	s_waitcnt vmcnt(0)
	v_mul_f64 v[98:99], v[106:107], v[42:43]
	v_fma_f64 v[194:195], v[4:5], v[94:95], -v[12:13]
	v_fma_f64 v[138:139], v[104:105], v[94:95], v[28:29]
	v_add_f64 v[12:13], v[192:193], v[84:85]
	v_add_f64 v[28:29], v[212:213], v[30:31]
	;; [unrolled: 1-line block ×3, first 2 shown]
	v_add_f64 v[4:5], v[112:113], -v[216:217]
	v_add_f64 v[102:103], v[100:101], v[14:15]
	v_add_f64 v[84:85], v[84:85], -v[192:193]
	v_add_f64 v[104:105], v[198:199], v[108:109]
	v_add_f64 v[112:113], v[86:87], v[206:207]
	v_add_f64 v[86:87], v[86:87], -v[206:207]
	v_add_f64 v[206:207], v[202:203], v[226:227]
	v_add_f64 v[108:109], v[198:199], -v[108:109]
	v_fma_f64 v[80:81], v[0:1], v[90:91], -v[26:27]
	v_mul_f64 v[0:1], v[6:7], v[42:43]
	v_fma_f64 v[42:43], v[24:25], v[90:91], v[92:93]
	v_fma_f64 v[192:193], v[6:7], v[40:41], -v[98:99]
	v_add_f64 v[6:7], v[88:89], -v[214:215]
	v_add_f64 v[24:25], v[30:31], -v[212:213]
	;; [unrolled: 1-line block ×3, first 2 shown]
	v_add_f64 v[90:91], v[12:13], v[94:95]
	ds_read_b64 v[94:95], v218
	ds_read_b64 v[118:119], v238
	;; [unrolled: 1-line block ×3, first 2 shown]
	buffer_load_dword v254, off, s[28:31], 0 offset:12 ; 4-byte Folded Reload
	v_add_f64 v[92:93], v[28:29], v[102:103]
	v_add_f64 v[26:27], v[8:9], -v[12:13]
	v_add_f64 v[12:13], v[12:13], -v[96:97]
	v_add_f64 v[98:99], v[84:85], v[4:5]
	v_add_f64 v[28:29], v[28:29], -v[100:101]
	v_add_f64 v[102:103], v[190:191], v[224:225]
	v_add_f64 v[8:9], v[96:97], -v[8:9]
	v_add_f64 v[14:15], v[100:101], -v[14:15]
	v_add_f64 v[214:215], v[116:117], v[104:105]
	v_add_f64 v[204:205], v[104:105], -v[206:207]
	v_add_f64 v[222:223], v[34:35], -v[108:109]
	;; [unrolled: 1-line block ×3, first 2 shown]
	v_fma_f64 v[208:209], v[106:107], v[40:41], v[0:1]
	v_add_f64 v[40:41], v[84:85], -v[4:5]
	v_add_f64 v[106:107], v[2:3], -v[84:85]
	;; [unrolled: 1-line block ×3, first 2 shown]
	v_add_f64 v[96:97], v[24:25], v[6:7]
	v_add_f64 v[100:101], v[24:25], -v[6:7]
	v_mul_f64 v[30:31], v[30:31], s[10:11]
	v_add_f64 v[6:7], v[6:7], -v[18:19]
	v_add_f64 v[0:1], v[186:187], v[90:91]
	v_add_f64 v[186:187], v[200:201], v[136:137]
	s_waitcnt lgkmcnt(2)
	v_add_f64 v[84:85], v[94:95], v[92:93]
	v_mul_f64 v[26:27], v[26:27], s[10:11]
	v_mul_f64 v[94:95], v[12:13], s[24:25]
	v_add_f64 v[2:3], v[98:99], v[2:3]
	v_mul_f64 v[98:99], v[28:29], s[24:25]
	v_add_f64 v[212:213], v[112:113], v[102:103]
	v_add_f64 v[24:25], v[18:19], -v[24:25]
	v_add_f64 v[136:137], v[136:137], -v[200:201]
	;; [unrolled: 1-line block ×3, first 2 shown]
	v_add_f64 v[226:227], v[82:83], v[156:157]
	v_add_f64 v[82:83], v[82:83], -v[156:157]
	v_add_f64 v[156:157], v[20:21], -v[158:159]
	ds_read_b64 v[88:89], v255
	v_mul_f64 v[40:41], v[40:41], s[22:23]
	v_mul_f64 v[198:199], v[4:5], s[4:5]
	v_add_f64 v[18:19], v[96:97], v[18:19]
	v_mul_f64 v[100:101], v[100:101], s[22:23]
	v_fma_f64 v[28:29], v[28:29], s[24:25], v[30:31]
	v_add_f64 v[96:97], v[190:191], -v[224:225]
	v_mul_f64 v[202:203], v[6:7], s[4:5]
	v_fma_f64 v[90:91], v[90:91], s[14:15], v[0:1]
	v_fma_f64 v[92:93], v[92:93], s[14:15], v[84:85]
	v_fma_f64 v[12:13], v[12:13], s[24:25], v[26:27]
	v_fma_f64 v[94:95], v[8:9], s[6:7], -v[94:95]
	v_fma_f64 v[8:9], v[8:9], s[16:17], -v[26:27]
	;; [unrolled: 1-line block ×4, first 2 shown]
	v_add_f64 v[26:27], v[186:187], v[212:213]
	v_add_f64 v[30:31], v[206:207], v[214:215]
	v_add_f64 v[190:191], v[102:103], -v[186:187]
	v_add_f64 v[186:187], v[186:187], -v[112:113]
	;; [unrolled: 1-line block ×4, first 2 shown]
	v_add_f64 v[34:35], v[200:201], v[34:35]
	v_fma_f64 v[212:213], v[106:107], s[18:19], v[40:41]
	v_fma_f64 v[40:41], v[4:5], s[4:5], -v[40:41]
	v_add_f64 v[200:201], v[108:109], -v[200:201]
	v_fma_f64 v[224:225], v[24:25], s[18:19], v[100:101]
	v_fma_f64 v[6:7], v[6:7], s[4:5], -v[100:101]
	v_fma_f64 v[100:101], v[106:107], s[20:21], -v[198:199]
	v_add_f64 v[198:199], v[136:137], v[86:87]
	v_fma_f64 v[24:25], v[24:25], s[20:21], -v[202:203]
	v_add_f64 v[106:107], v[28:29], v[92:93]
	v_add_f64 v[28:29], v[112:113], -v[102:103]
	v_add_f64 v[102:103], v[86:87], -v[96:97]
	;; [unrolled: 1-line block ×4, first 2 shown]
	v_add_f64 v[206:207], v[94:95], v[90:91]
	v_add_f64 v[4:5], v[184:185], v[26:27]
	s_waitcnt lgkmcnt(2)
	v_add_f64 v[86:87], v[118:119], v[30:31]
	v_mul_f64 v[118:119], v[190:191], s[10:11]
	v_mul_f64 v[184:185], v[204:205], s[10:11]
	;; [unrolled: 1-line block ×6, first 2 shown]
	v_add_f64 v[98:99], v[98:99], v[92:93]
	v_add_f64 v[14:15], v[14:15], v[92:93]
	;; [unrolled: 1-line block ×4, first 2 shown]
	v_fma_f64 v[90:91], v[2:3], s[0:1], v[212:213]
	v_fma_f64 v[212:213], v[18:19], s[0:1], v[224:225]
	v_add_f64 v[116:117], v[198:199], v[96:97]
	v_add_f64 v[96:97], v[34:35], v[108:109]
	v_fma_f64 v[100:101], v[2:3], s[0:1], v[100:101]
	v_fma_f64 v[24:25], v[18:19], s[0:1], v[24:25]
	v_mul_f64 v[92:93], v[102:103], s[4:5]
	v_mul_f64 v[108:109], v[112:113], s[24:25]
	v_add_f64 v[216:217], v[154:155], v[10:11]
	v_add_f64 v[224:225], v[32:33], v[162:163]
	v_fma_f64 v[198:199], v[26:27], s[14:15], v[4:5]
	v_fma_f64 v[30:31], v[30:31], s[14:15], v[86:87]
	;; [unrolled: 1-line block ×4, first 2 shown]
	v_fma_f64 v[190:191], v[28:29], s[6:7], -v[190:191]
	v_fma_f64 v[28:29], v[28:29], s[16:17], -v[118:119]
	v_fma_f64 v[118:119], v[136:137], s[18:19], v[202:203]
	v_fma_f64 v[214:215], v[200:201], s[18:19], v[204:205]
	v_fma_f64 v[204:205], v[222:223], s[4:5], -v[204:205]
	v_fma_f64 v[200:201], v[200:201], s[20:21], -v[94:95]
	v_add_f64 v[222:223], v[160:161], v[16:17]
	v_fma_f64 v[2:3], v[2:3], s[0:1], v[40:41]
	v_fma_f64 v[6:7], v[18:19], s[0:1], v[6:7]
	v_fma_f64 v[18:19], v[104:105], s[16:17], -v[184:185]
	v_fma_f64 v[102:103], v[102:103], s[4:5], -v[202:203]
	v_add_f64 v[202:203], v[152:153], v[22:23]
	v_add_f64 v[162:163], v[32:33], -v[162:163]
	v_add_f64 v[152:153], v[22:23], -v[152:153]
	v_fma_f64 v[40:41], v[136:137], s[20:21], -v[92:93]
	v_fma_f64 v[104:105], v[104:105], s[6:7], -v[108:109]
	v_add_f64 v[34:35], v[212:213], v[12:13]
	v_add_f64 v[92:93], v[106:107], -v[90:91]
	v_add_f64 v[26:27], v[24:25], v[8:9]
	v_add_f64 v[94:95], v[14:15], -v[100:101]
	v_add_f64 v[136:137], v[186:187], v[198:199]
	v_add_f64 v[184:185], v[112:113], v[30:31]
	;; [unrolled: 1-line block ×4, first 2 shown]
	v_fma_f64 v[118:119], v[116:117], s[0:1], v[118:119]
	v_fma_f64 v[190:191], v[96:97], s[0:1], v[214:215]
	;; [unrolled: 1-line block ×4, first 2 shown]
	v_add_f64 v[112:113], v[158:159], v[20:21]
	v_add_f64 v[204:205], v[224:225], v[216:217]
	;; [unrolled: 1-line block ×3, first 2 shown]
	v_add_f64 v[32:33], v[206:207], -v[6:7]
	v_add_f64 v[18:19], v[18:19], v[30:31]
	v_add_f64 v[96:97], v[2:3], v[98:99]
	v_add_f64 v[28:29], v[6:7], v[206:207]
	v_add_f64 v[98:99], v[98:99], -v[2:3]
	v_fma_f64 v[40:41], v[116:117], s[0:1], v[40:41]
	v_add_f64 v[158:159], v[104:105], v[30:31]
	v_fma_f64 v[116:117], v[116:117], s[0:1], v[102:103]
	v_add_f64 v[30:31], v[8:9], -v[24:25]
	v_add_f64 v[100:101], v[100:101], v[14:15]
	v_add_f64 v[24:25], v[12:13], -v[212:213]
	v_add_f64 v[102:103], v[90:91], v[106:107]
	v_add_f64 v[2:3], v[154:155], -v[10:11]
	v_add_f64 v[8:9], v[160:161], -v[16:17]
	;; [unrolled: 1-line block ×4, first 2 shown]
	v_add_f64 v[20:21], v[190:191], v[136:137]
	v_add_f64 v[14:15], v[108:109], -v[198:199]
	v_add_f64 v[22:23], v[200:201], v[186:187]
	v_add_f64 v[160:161], v[216:217], -v[112:113]
	v_add_f64 v[10:11], v[112:113], v[204:205]
	v_add_f64 v[154:155], v[202:203], v[214:215]
	v_add_f64 v[204:205], v[112:113], -v[224:225]
	v_add_f64 v[214:215], v[156:157], -v[162:163]
	v_add_f64 v[16:17], v[198:199], v[108:109]
	v_add_f64 v[12:13], v[186:187], -v[200:201]
	v_add_f64 v[200:201], v[146:147], v[110:111]
	v_add_f64 v[104:105], v[184:185], -v[118:119]
	v_add_f64 v[112:113], v[18:19], -v[40:41]
	v_add_f64 v[106:107], v[116:117], v[158:159]
	v_add_f64 v[108:109], v[158:159], -v[116:117]
	;; [unrolled: 3-line block ×3, first 2 shown]
	v_add_f64 v[186:187], v[156:157], v[162:163]
	v_add_f64 v[162:163], v[162:163], -v[2:3]
	v_add_f64 v[116:117], v[40:41], v[18:19]
	v_add_f64 v[40:41], v[226:227], -v[222:223]
	v_add_f64 v[18:19], v[136:137], -v[190:191]
	v_mul_f64 v[136:137], v[212:213], s[22:23]
	v_add_f64 v[118:119], v[118:119], v[184:185]
	v_mul_f64 v[160:161], v[160:161], s[10:11]
	v_add_f64 v[6:7], v[180:181], v[10:11]
	s_waitcnt lgkmcnt(1)
	v_add_f64 v[90:91], v[210:211], v[154:155]
	v_mul_f64 v[180:181], v[204:205], s[24:25]
	v_mul_f64 v[210:211], v[206:207], s[24:25]
	;; [unrolled: 1-line block ×3, first 2 shown]
	v_add_f64 v[184:185], v[148:149], v[114:115]
	v_add_f64 v[212:213], v[182:183], v[170:171]
	v_add_f64 v[214:215], v[144:145], v[168:169]
	v_add_f64 v[156:157], v[2:3], -v[156:157]
	v_add_f64 v[170:171], v[182:183], -v[170:171]
	;; [unrolled: 1-line block ×4, first 2 shown]
	v_add_f64 v[222:223], v[216:217], v[200:201]
	v_add_f64 v[150:151], v[150:151], v[188:189]
	;; [unrolled: 1-line block ×3, first 2 shown]
	v_mul_f64 v[2:3], v[162:163], s[4:5]
	v_add_f64 v[198:199], v[152:153], v[82:83]
	v_add_f64 v[82:83], v[82:83], -v[8:9]
	v_mul_f64 v[202:203], v[202:203], s[10:11]
	v_add_f64 v[152:153], v[8:9], -v[152:153]
	v_add_f64 v[224:225], v[166:167], -v[164:165]
	v_fma_f64 v[204:205], v[204:205], s[24:25], v[160:161]
	v_fma_f64 v[10:11], v[10:11], s[14:15], v[6:7]
	;; [unrolled: 1-line block ×3, first 2 shown]
	v_fma_f64 v[180:181], v[158:159], s[6:7], -v[180:181]
	v_fma_f64 v[210:211], v[40:41], s[6:7], -v[210:211]
	;; [unrolled: 1-line block ×4, first 2 shown]
	v_add_f64 v[188:189], v[212:213], v[184:185]
	v_add_f64 v[160:161], v[146:147], -v[110:111]
	v_add_f64 v[110:111], v[200:201], -v[214:215]
	v_fma_f64 v[190:191], v[156:157], s[18:19], v[190:191]
	v_add_f64 v[226:227], v[168:169], -v[144:145]
	v_add_f64 v[232:233], v[170:171], -v[148:149]
	v_add_f64 v[222:223], v[214:215], v[222:223]
	v_add_f64 v[214:215], v[214:215], -v[216:217]
	v_add_f64 v[164:165], v[150:151], -v[212:213]
	v_fma_f64 v[156:157], v[156:157], s[20:21], -v[2:3]
	v_add_f64 v[8:9], v[198:199], v[8:9]
	v_mul_f64 v[198:199], v[82:83], s[4:5]
	v_fma_f64 v[82:83], v[82:83], s[4:5], -v[136:137]
	v_fma_f64 v[162:163], v[206:207], s[24:25], v[202:203]
	v_fma_f64 v[202:203], v[40:41], s[16:17], -v[202:203]
	v_fma_f64 v[206:207], v[152:153], s[18:19], v[136:137]
	v_add_f64 v[40:41], v[204:205], v[10:11]
	v_add_f64 v[204:205], v[182:183], -v[170:171]
	v_add_f64 v[170:171], v[182:183], v[170:171]
	v_add_f64 v[210:211], v[210:211], v[154:155]
	v_fma_f64 v[240:241], v[186:187], s[0:1], v[114:115]
	v_add_f64 v[180:181], v[180:181], v[10:11]
	v_add_f64 v[166:167], v[150:151], v[188:189]
	v_add_f64 v[150:151], v[184:185], -v[150:151]
	v_mul_f64 v[188:189], v[110:111], s[10:11]
	v_fma_f64 v[136:137], v[186:187], s[0:1], v[190:191]
	v_add_f64 v[190:191], v[216:217], -v[200:201]
	v_add_f64 v[216:217], v[148:149], -v[182:183]
	v_add_f64 v[2:3], v[178:179], v[222:223]
	v_mul_f64 v[200:201], v[214:215], s[24:25]
	v_mul_f64 v[245:246], v[232:233], s[4:5]
	v_add_f64 v[178:179], v[212:213], -v[184:185]
	v_add_f64 v[168:169], v[224:225], -v[160:161]
	v_fma_f64 v[198:199], v[152:153], s[20:21], -v[198:199]
	v_fma_f64 v[234:235], v[8:9], s[0:1], v[82:83]
	v_add_f64 v[82:83], v[162:163], v[154:155]
	v_add_f64 v[146:147], v[202:203], v[154:155]
	v_add_f64 v[154:155], v[226:227], -v[224:225]
	v_fma_f64 v[152:153], v[8:9], s[0:1], v[206:207]
	v_mul_f64 v[242:243], v[204:205], s[22:23]
	v_add_f64 v[202:203], v[226:227], v[224:225]
	v_mul_f64 v[206:207], v[164:165], s[24:25]
	v_add_f64 v[114:115], v[240:241], v[210:211]
	v_add_f64 v[110:111], v[210:211], -v[240:241]
	v_add_f64 v[144:145], v[158:159], v[10:11]
	v_fma_f64 v[158:159], v[186:187], s[0:1], v[156:157]
	v_fma_f64 v[210:211], v[214:215], s[24:25], v[188:189]
	ds_read_b64 v[214:215], v236
	v_mul_f64 v[186:187], v[150:151], s[10:11]
	v_add_f64 v[170:171], v[170:171], v[148:149]
	v_fma_f64 v[182:183], v[222:223], s[14:15], v[2:3]
	v_fma_f64 v[212:213], v[190:191], s[6:7], -v[200:201]
	v_fma_f64 v[200:201], v[190:191], s[16:17], -v[188:189]
	;; [unrolled: 1-line block ×3, first 2 shown]
	v_mul_f64 v[204:205], v[168:169], s[4:5]
	v_fma_f64 v[162:163], v[8:9], s[0:1], v[198:199]
	v_add_f64 v[10:11], v[180:181], -v[234:235]
	v_add_f64 v[8:9], v[234:235], v[180:181]
	v_add_f64 v[180:181], v[160:161], -v[226:227]
	v_mul_f64 v[198:199], v[154:155], s[22:23]
	v_add_f64 v[154:155], v[48:49], v[120:121]
	v_fma_f64 v[190:191], v[216:217], s[18:19], v[242:243]
	v_add_f64 v[156:157], v[122:123], v[140:141]
	v_add_f64 v[148:149], v[44:45], v[126:127]
	;; [unrolled: 1-line block ×4, first 2 shown]
	v_fma_f64 v[206:207], v[178:179], s[6:7], -v[206:207]
	v_fma_f64 v[184:185], v[232:233], s[4:5], -v[242:243]
	v_add_f64 v[232:233], v[132:133], v[52:53]
	v_add_f64 v[124:125], v[124:125], -v[142:143]
	v_fma_f64 v[164:165], v[164:165], s[24:25], v[186:187]
	v_fma_f64 v[224:225], v[178:179], s[16:17], -v[186:187]
	v_add_f64 v[240:241], v[54:55], -v[134:135]
	v_add_f64 v[54:55], v[134:135], v[54:55]
	v_add_f64 v[122:123], v[122:123], -v[140:141]
	v_add_f64 v[132:133], v[52:53], -v[132:133]
	;; [unrolled: 1-line block ×3, first 2 shown]
	v_add_f64 v[202:203], v[152:153], v[40:41]
	v_add_f64 v[210:211], v[210:211], v[182:183]
	v_add_f64 v[212:213], v[212:213], v[182:183]
	v_fma_f64 v[204:205], v[180:181], s[20:21], -v[204:205]
	v_fma_f64 v[168:169], v[168:169], s[4:5], -v[198:199]
	v_fma_f64 v[226:227], v[180:181], s[18:19], v[198:199]
	v_add_f64 v[242:243], v[200:201], v[182:183]
	v_add_f64 v[234:235], v[156:157], v[154:155]
	v_add_f64 v[186:187], v[82:83], -v[136:137]
	v_add_f64 v[134:135], v[150:151], v[148:149]
	v_fma_f64 v[190:191], v[170:171], s[0:1], v[190:191]
	v_fma_f64 v[188:189], v[170:171], s[0:1], v[188:189]
	;; [unrolled: 1-line block ×3, first 2 shown]
	v_add_f64 v[170:171], v[162:163], v[144:145]
	v_add_f64 v[178:179], v[146:147], -v[158:159]
	v_add_f64 v[198:199], v[144:145], -v[162:163]
	v_add_f64 v[180:181], v[158:159], v[146:147]
	v_add_f64 v[200:201], v[40:41], -v[152:153]
	v_add_f64 v[44:45], v[44:45], -v[126:127]
	;; [unrolled: 1-line block ×4, first 2 shown]
	v_add_f64 v[182:183], v[136:137], v[82:83]
	v_fma_f64 v[152:153], v[160:161], s[0:1], v[204:205]
	v_fma_f64 v[52:53], v[160:161], s[0:1], v[168:169]
	;; [unrolled: 1-line block ×3, first 2 shown]
	v_add_f64 v[120:121], v[232:233], v[234:235]
	v_add_f64 v[134:135], v[54:55], v[134:135]
	;; [unrolled: 1-line block ×4, first 2 shown]
	v_add_f64 v[162:163], v[212:213], -v[184:185]
	v_add_f64 v[82:83], v[184:185], v[212:213]
	v_add_f64 v[184:185], v[124:125], -v[44:45]
	v_mul_f64 v[144:145], v[144:145], s[22:23]
	s_waitcnt vmcnt(0)
	ds_read_b64 v[222:223], v254
	v_mov_b32_e32 v255, v236
	buffer_load_dword v236, off, s[28:31], 0 ; 4-byte Folded Reload
	s_waitcnt lgkmcnt(2)
	v_add_f64 v[88:89], v[88:89], v[166:167]
	v_fma_f64 v[166:167], v[166:167], s[14:15], v[88:89]
	v_add_f64 v[140:141], v[206:207], v[166:167]
	v_add_f64 v[40:41], v[224:225], v[166:167]
	;; [unrolled: 1-line block ×3, first 2 shown]
	v_add_f64 v[166:167], v[154:155], -v[232:233]
	v_add_f64 v[206:207], v[148:149], -v[54:55]
	;; [unrolled: 1-line block ×5, first 2 shown]
	v_add_f64 v[156:157], v[240:241], v[124:125]
	v_add_f64 v[164:165], v[242:243], -v[188:189]
	v_add_f64 v[150:151], v[150:151], -v[148:149]
	s_waitcnt lgkmcnt(1)
	v_add_f64 v[124:125], v[214:215], v[134:135]
	v_add_f64 v[142:143], v[52:53], v[140:141]
	v_add_f64 v[136:137], v[140:141], -v[52:53]
	v_add_f64 v[140:141], v[122:123], -v[48:49]
	v_add_f64 v[52:53], v[176:177], v[120:121]
	v_mul_f64 v[176:177], v[126:127], s[24:25]
	v_add_f64 v[146:147], v[40:41], -v[152:153]
	v_add_f64 v[122:123], v[132:133], v[122:123]
	v_mul_f64 v[188:189], v[166:167], s[10:11]
	v_mul_f64 v[206:207], v[206:207], s[10:11]
	;; [unrolled: 1-line block ×3, first 2 shown]
	v_add_f64 v[148:149], v[152:153], v[40:41]
	v_add_f64 v[166:167], v[210:211], -v[190:191]
	v_add_f64 v[40:41], v[48:49], -v[132:133]
	v_mul_f64 v[132:133], v[224:225], s[22:23]
	v_add_f64 v[152:153], v[46:47], v[194:195]
	v_add_f64 v[190:191], v[72:73], v[36:37]
	v_add_f64 v[210:211], v[44:45], -v[240:241]
	v_add_f64 v[44:45], v[156:157], v[44:45]
	v_mul_f64 v[156:157], v[184:185], s[4:5]
	v_fma_f64 v[224:225], v[184:185], s[4:5], -v[144:145]
	v_add_f64 v[184:185], v[158:159], -v[204:205]
	v_add_f64 v[36:37], v[72:73], -v[36:37]
	;; [unrolled: 1-line block ×4, first 2 shown]
	v_mul_f64 v[214:215], v[140:141], s[4:5]
	v_fma_f64 v[120:121], v[120:121], s[14:15], v[52:53]
	v_fma_f64 v[176:177], v[154:155], s[6:7], -v[176:177]
	v_add_f64 v[48:49], v[122:123], v[48:49]
	v_fma_f64 v[122:123], v[134:135], s[14:15], v[124:125]
	v_fma_f64 v[126:127], v[126:127], s[24:25], v[188:189]
	;; [unrolled: 1-line block ×3, first 2 shown]
	v_fma_f64 v[134:135], v[150:151], s[6:7], -v[212:213]
	v_fma_f64 v[154:155], v[154:155], s[16:17], -v[188:189]
	v_add_f64 v[188:189], v[128:129], v[76:77]
	v_fma_f64 v[150:151], v[150:151], s[16:17], -v[206:207]
	v_fma_f64 v[140:141], v[140:141], s[4:5], -v[132:133]
	v_fma_f64 v[132:133], v[40:41], s[18:19], v[132:133]
	v_add_f64 v[206:207], v[190:191], v[152:153]
	v_add_f64 v[212:213], v[50:51], v[138:139]
	v_fma_f64 v[144:145], v[210:211], s[18:19], v[144:145]
	v_fma_f64 v[156:157], v[210:211], s[20:21], -v[156:157]
	v_fma_f64 v[224:225], v[44:45], s[0:1], v[224:225]
	v_add_f64 v[50:51], v[50:51], -v[138:139]
	v_fma_f64 v[40:41], v[40:41], s[20:21], -v[214:215]
	v_add_f64 v[214:215], v[68:69], v[38:39]
	v_add_f64 v[210:211], v[176:177], v[120:121]
	v_add_f64 v[38:39], v[68:69], -v[38:39]
	v_add_f64 v[68:69], v[76:77], -v[128:129]
	v_add_f64 v[76:77], v[130:131], v[62:63]
	v_add_f64 v[176:177], v[204:205], v[158:159]
	;; [unrolled: 1-line block ×5, first 2 shown]
	v_add_f64 v[130:131], v[152:153], -v[188:189]
	v_add_f64 v[134:135], v[188:189], -v[190:191]
	v_fma_f64 v[158:159], v[48:49], s[0:1], v[140:141]
	v_add_f64 v[150:151], v[150:151], v[122:123]
	v_add_f64 v[188:189], v[188:189], v[206:207]
	v_add_f64 v[120:121], v[154:155], v[120:121]
	v_fma_f64 v[132:133], v[48:49], s[0:1], v[132:133]
	v_fma_f64 v[154:155], v[44:45], s[0:1], v[144:145]
	;; [unrolled: 1-line block ×3, first 2 shown]
	v_add_f64 v[144:145], v[190:191], -v[152:153]
	v_fma_f64 v[48:49], v[48:49], s[0:1], v[40:41]
	v_add_f64 v[122:123], v[214:215], v[212:213]
	v_add_f64 v[62:63], v[210:211], -v[224:225]
	v_add_f64 v[156:157], v[72:73], v[38:39]
	v_add_f64 v[152:153], v[68:69], v[36:37]
	v_add_f64 v[190:191], v[212:213], -v[76:77]
	v_add_f64 v[194:195], v[76:77], -v[214:215]
	;; [unrolled: 1-line block ×5, first 2 shown]
	v_mul_f64 v[130:131], v[130:131], s[10:11]
	v_mul_f64 v[232:233], v[134:135], s[24:25]
	v_add_f64 v[140:141], v[158:159], v[128:129]
	v_add_f64 v[38:39], v[38:39], -v[50:51]
	v_add_f64 v[40:41], v[174:175], v[188:189]
	v_add_f64 v[54:55], v[224:225], v[210:211]
	v_add_f64 v[138:139], v[128:129], -v[158:159]
	v_add_f64 v[158:159], v[70:71], v[208:209]
	v_add_f64 v[174:175], v[66:67], v[80:81]
	;; [unrolled: 1-line block ×3, first 2 shown]
	v_add_f64 v[128:129], v[214:215], -v[212:213]
	v_add_f64 v[68:69], v[46:47], -v[68:69]
	;; [unrolled: 1-line block ×3, first 2 shown]
	v_add_f64 v[76:77], v[76:77], v[122:123]
	v_add_f64 v[122:123], v[74:75], v[192:193]
	;; [unrolled: 1-line block ×4, first 2 shown]
	v_mul_f64 v[152:153], v[190:191], s[10:11]
	v_mul_f64 v[156:157], v[194:195], s[24:25]
	;; [unrolled: 1-line block ×5, first 2 shown]
	v_fma_f64 v[134:135], v[134:135], s[24:25], v[130:131]
	v_fma_f64 v[214:215], v[144:145], s[6:7], -v[232:233]
	v_fma_f64 v[130:131], v[144:145], s[16:17], -v[130:131]
	v_mul_f64 v[144:145], v[38:39], s[4:5]
	v_fma_f64 v[188:189], v[188:189], s[14:15], v[40:41]
	v_add_f64 v[66:67], v[66:67], -v[80:81]
	v_add_f64 v[42:43], v[64:65], -v[42:43]
	v_add_f64 v[64:65], v[56:57], v[60:61]
	v_add_f64 v[80:81], v[58:59], v[78:79]
	v_add_f64 v[56:57], v[60:61], -v[56:57]
	v_add_f64 v[58:59], v[78:79], -v[58:59]
	v_add_f64 v[78:79], v[210:211], v[158:159]
	v_add_f64 v[70:71], v[70:71], -v[208:209]
	v_add_f64 v[74:75], v[74:75], -v[192:193]
	v_add_f64 v[60:61], v[174:175], v[122:123]
	v_fma_f64 v[224:225], v[194:195], s[24:25], v[152:153]
	v_fma_f64 v[156:157], v[128:129], s[6:7], -v[156:157]
	v_fma_f64 v[128:129], v[128:129], s[16:17], -v[152:153]
	v_fma_f64 v[152:153], v[68:69], s[18:19], v[190:191]
	v_fma_f64 v[192:193], v[72:73], s[18:19], v[206:207]
	v_fma_f64 v[36:37], v[36:37], s[4:5], -v[190:191]
	v_fma_f64 v[190:191], v[38:39], s[4:5], -v[206:207]
	;; [unrolled: 1-line block ×4, first 2 shown]
	v_add_f64 v[134:135], v[134:135], v[188:189]
	v_add_f64 v[206:207], v[214:215], v[188:189]
	;; [unrolled: 1-line block ×3, first 2 shown]
	v_add_f64 v[38:39], v[122:123], -v[64:65]
	v_add_f64 v[194:195], v[64:65], -v[174:175]
	;; [unrolled: 1-line block ×4, first 2 shown]
	v_add_f64 v[212:213], v[56:57], v[66:67]
	v_add_f64 v[214:215], v[42:43], -v[70:71]
	v_add_f64 v[42:43], v[58:59], v[42:43]
	v_add_f64 v[60:61], v[64:65], v[60:61]
	;; [unrolled: 1-line block ×3, first 2 shown]
	v_add_f64 v[78:79], v[158:159], -v[80:81]
	v_add_f64 v[80:81], v[80:81], -v[210:211]
	;; [unrolled: 1-line block ×7, first 2 shown]
	v_fma_f64 v[36:37], v[46:47], s[0:1], v[36:37]
	v_fma_f64 v[234:235], v[46:47], s[0:1], v[68:69]
	;; [unrolled: 1-line block ×3, first 2 shown]
	v_add_f64 v[72:73], v[120:121], -v[44:45]
	v_mul_f64 v[226:227], v[194:195], s[24:25]
	v_mul_f64 v[188:189], v[188:189], s[22:23]
	;; [unrolled: 1-line block ×3, first 2 shown]
	v_add_f64 v[74:75], v[212:213], v[74:75]
	v_mul_f64 v[210:211], v[214:215], s[4:5]
	v_add_f64 v[42:43], v[42:43], v[70:71]
	s_waitcnt lgkmcnt(0)
	v_add_f64 v[122:123], v[222:223], v[64:65]
	v_mul_f64 v[78:79], v[78:79], s[10:11]
	v_mul_f64 v[70:71], v[66:67], s[4:5]
	v_fma_f64 v[226:227], v[174:175], s[6:7], -v[226:227]
	v_fma_f64 v[66:67], v[66:67], s[4:5], -v[188:189]
	;; [unrolled: 1-line block ×3, first 2 shown]
	v_fma_f64 v[208:209], v[58:59], s[18:19], v[208:209]
	v_fma_f64 v[58:59], v[58:59], s[20:21], -v[210:211]
	v_fma_f64 v[64:65], v[64:65], s[14:15], v[122:123]
	v_fma_f64 v[208:209], v[42:43], s[0:1], v[208:209]
	;; [unrolled: 1-line block ×5, first 2 shown]
	v_add_f64 v[58:59], v[232:233], v[130:131]
	s_waitcnt vmcnt(0)
	ds_read_b64 v[216:217], v236
	s_waitcnt lgkmcnt(0)
	s_waitcnt_vscnt null, 0x0
	s_barrier
	buffer_gl0_inv
	ds_write2_b64 v218, v[0:1], v[34:35] offset1:49
	ds_write2_b64 v218, v[26:27], v[32:33] offset0:98 offset1:147
	ds_write2_b64 v218, v[28:29], v[30:31] offset0:196 offset1:245
	;; [unrolled: 1-line block ×4, first 2 shown]
	buffer_load_dword v0, off, s[28:31], 0 offset:52 ; 4-byte Folded Reload
	v_add_f64 v[144:145], v[216:217], v[76:77]
	v_mul_f64 v[216:217], v[38:39], s[10:11]
	v_add_f64 v[38:39], v[172:173], v[60:61]
	v_mul_f64 v[172:173], v[80:81], s[24:25]
	v_fma_f64 v[80:81], v[80:81], s[24:25], v[78:79]
	v_fma_f64 v[78:79], v[158:159], s[16:17], -v[78:79]
	v_fma_f64 v[212:213], v[76:77], s[14:15], v[144:145]
	v_fma_f64 v[222:223], v[194:195], s[24:25], v[216:217]
	v_fma_f64 v[174:175], v[174:175], s[16:17], -v[216:217]
	v_fma_f64 v[172:173], v[158:159], s[6:7], -v[172:173]
	v_fma_f64 v[158:159], v[56:57], s[18:19], v[188:189]
	v_fma_f64 v[56:57], v[56:57], s[20:21], -v[70:71]
	v_add_f64 v[194:195], v[204:205], -v[132:133]
	v_add_f64 v[80:81], v[80:81], v[64:65]
	v_add_f64 v[78:79], v[78:79], v[64:65]
	v_fma_f64 v[60:61], v[60:61], s[14:15], v[38:39]
	v_add_f64 v[76:77], v[154:155], v[126:127]
	v_add_f64 v[70:71], v[44:45], v[120:121]
	v_add_f64 v[188:189], v[150:151], -v[48:49]
	v_add_f64 v[210:211], v[224:225], v[212:213]
	v_add_f64 v[216:217], v[156:157], v[212:213]
	;; [unrolled: 1-line block ×3, first 2 shown]
	v_fma_f64 v[212:213], v[50:51], s[0:1], v[192:193]
	v_fma_f64 v[50:51], v[50:51], s[0:1], v[190:191]
	v_add_f64 v[192:193], v[132:133], v[204:205]
	v_add_nc_u32_e32 v205, 0xc00, v218
	v_add_f64 v[172:173], v[172:173], v[64:65]
	v_fma_f64 v[245:246], v[74:75], s[0:1], v[56:57]
	v_add_f64 v[222:223], v[222:223], v[60:61]
	v_fma_f64 v[224:225], v[46:47], s[0:1], v[152:153]
	ds_write2_b64 v205, v[14:15], v[16:17] offset0:106 offset1:155
	v_add_f64 v[46:47], v[226:227], v[60:61]
	v_add_f64 v[226:227], v[174:175], v[60:61]
	v_fma_f64 v[240:241], v[74:75], s[0:1], v[158:159]
	v_add_f64 v[74:75], v[126:127], -v[154:155]
	v_add_f64 v[60:61], v[130:131], -v[232:233]
	v_add_f64 v[190:191], v[48:49], v[150:151]
	v_add_f64 v[156:157], v[36:37], v[216:217]
	v_add_f64 v[150:151], v[216:217], -v[36:37]
	v_add_f64 v[68:69], v[212:213], v[134:135]
	v_add_f64 v[64:65], v[206:207], -v[50:51]
	v_add_f64 v[56:57], v[50:51], v[206:207]
	v_add_nc_u32_e32 v207, 0x1000, v197
	ds_write2_b64 v229, v[12:13], v[18:19] offset0:76 offset1:125
	ds_write2_b64 v207, v[6:7], v[202:203] offset0:174 offset1:223
	v_add_nc_u32_e32 v206, 0x1800, v197
	v_add_f64 v[66:67], v[134:135], -v[212:213]
	v_add_f64 v[50:51], v[208:209], v[222:223]
	v_add_f64 v[44:45], v[242:243], v[226:227]
	v_add_f64 v[48:49], v[46:47], -v[42:43]
	v_add_f64 v[42:43], v[42:43], v[46:47]
	v_add_f64 v[46:47], v[226:227], -v[242:243]
	v_add_f64 v[36:37], v[222:223], -v[208:209]
	;; [unrolled: 1-line block ×3, first 2 shown]
	v_add_f64 v[154:155], v[234:235], v[128:129]
	v_add_f64 v[128:129], v[78:79], -v[245:246]
	v_add_f64 v[132:133], v[214:215], v[172:173]
	v_add_f64 v[126:127], v[172:173], -v[214:215]
	v_add_f64 v[130:131], v[245:246], v[78:79]
	v_add_f64 v[134:135], v[80:81], -v[240:241]
	v_add_f64 v[120:121], v[240:241], v[80:81]
	v_add_f64 v[174:175], v[210:211], -v[224:225]
	v_mov_b32_e32 v214, v250
	v_mov_b32_e32 v217, v219
	v_add_f64 v[158:159], v[224:225], v[210:211]
	s_waitcnt vmcnt(0)
	v_lshl_add_u32 v204, v0, 3, 0
	buffer_load_dword v0, off, s[28:31], 0 offset:44 ; 4-byte Folded Reload
	v_add_nc_u32_e32 v203, 0x2000, v204
	ds_write2_b64 v206, v[170:171], v[10:11] offset0:16 offset1:65
	ds_write2_b64 v206, v[8:9], v[198:199] offset0:114 offset1:163
	ds_write_b64 v197, v[200:201] offset:7840
	ds_write2_b64 v203, v[2:3], v[168:169] offset0:5 offset1:54
	v_add_nc_u32_e32 v199, 0x4000, v196
	ds_write2_b64 v203, v[160:161], v[162:163] offset0:103 offset1:152
	s_clause 0x2
	buffer_load_dword v163, off, s[28:31], 0 offset:8
	buffer_load_dword v162, off, s[28:31], 0 offset:16
	buffer_load_dword v161, off, s[28:31], 0 offset:4
	ds_write2_b64 v203, v[82:83], v[164:165] offset0:201 offset1:250
	ds_write_b64 v204, v[166:167] offset:10584
	v_mov_b32_e32 v160, v249
	s_waitcnt vmcnt(3)
	v_lshl_add_u32 v202, v0, 3, 0
	buffer_load_dword v0, off, s[28:31], 0 offset:40 ; 4-byte Folded Reload
	v_add_nc_u32_e32 v200, 0x2800, v202
	v_add_nc_u32_e32 v209, 0x3000, v202
	ds_write2_b64 v200, v[52:53], v[76:77] offset0:92 offset1:141
	ds_write2_b64 v200, v[70:71], v[62:63] offset0:190 offset1:239
	;; [unrolled: 1-line block ×3, first 2 shown]
	ds_write_b64 v202, v[74:75] offset:13328
	s_waitcnt vmcnt(0)
	v_lshl_add_u32 v198, v0, 3, 0
	v_add_nc_u32_e32 v208, 0x3000, v198
	v_add_nc_u32_e32 v201, 0x3800, v198
	ds_write2_b64 v208, v[40:41], v[68:69] offset0:179 offset1:228
	ds_write2_b64 v201, v[58:59], v[64:65] offset0:21 offset1:70
	ds_write2_b64 v201, v[56:57], v[60:61] offset0:119 offset1:168
	ds_write_b64 v198, v[66:67] offset:16072
	ds_write2_b64 v199, v[38:39], v[50:51] offset0:10 offset1:59
	ds_write2_b64 v199, v[44:45], v[48:49] offset0:108 offset1:157
	;; [unrolled: 1-line block ×3, first 2 shown]
	ds_write_b64 v196, v[36:37] offset:18816
	v_mov_b32_e32 v40, v238
	s_waitcnt lgkmcnt(0)
	s_barrier
	buffer_gl0_inv
	ds_read2_b64 v[20:23], v237 offset0:87 offset1:136
	ds_read2_b64 v[76:79], v229 offset0:125 offset1:174
	;; [unrolled: 1-line block ×12, first 2 shown]
	ds_read_b64 v[212:213], v218
	ds_read_b64 v[215:216], v40
	;; [unrolled: 1-line block ×3, first 2 shown]
	v_mov_b32_e32 v40, v248
	v_mov_b32_e32 v238, v237
	buffer_store_dword v40, off, s[28:31], 0 offset:40 ; 4-byte Folded Spill
	ds_read_b64 v[166:167], v248
	ds_read2_b64 v[44:47], v250 offset0:65 offset1:114
	ds_read2_b64 v[40:43], v163 offset0:111 offset1:160
	;; [unrolled: 1-line block ×9, first 2 shown]
	ds_read_b64 v[168:169], v255
	ds_read_b64 v[170:171], v236
	;; [unrolled: 1-line block ×3, first 2 shown]
	s_waitcnt lgkmcnt(0)
	s_waitcnt_vscnt null, 0x0
	s_barrier
	buffer_gl0_inv
	ds_write2_b64 v218, v[84:85], v[92:93] offset1:49
	ds_write2_b64 v218, v[94:95], v[96:97] offset0:98 offset1:147
	buffer_store_dword v218, off, s[28:31], 0 offset:12 ; 4-byte Folded Spill
	ds_write2_b64 v218, v[98:99], v[100:101] offset0:196 offset1:245
	ds_write2_b64 v237, v[102:103], v[86:87] offset0:38 offset1:87
	;; [unrolled: 1-line block ×8, first 2 shown]
	ds_write_b64 v197, v[182:183] offset:7840
	ds_write2_b64 v203, v[88:89], v[184:185] offset0:5 offset1:54
	ds_write2_b64 v203, v[146:147], v[142:143] offset0:103 offset1:152
	ds_write2_b64 v203, v[136:137], v[148:149] offset0:201 offset1:250
	ds_write_b64 v204, v[176:177] offset:10584
	ds_write2_b64 v200, v[124:125], v[194:195] offset0:92 offset1:141
	ds_write2_b64 v200, v[188:189], v[140:141] offset0:190 offset1:239
	ds_write2_b64 v209, v[138:139], v[190:191] offset0:32 offset1:81
	;; [unrolled: 4-line block ×4, first 2 shown]
	ds_write_b64 v196, v[120:121] offset:18816
	s_waitcnt lgkmcnt(0)
	s_waitcnt_vscnt null, 0x0
	s_barrier
	buffer_gl0_inv
	s_and_saveexec_b32 s26, vcc_lo
	s_cbranch_execz .LBB0_15
; %bb.14:
	v_mul_i32_i24_e32 v174, 6, v228
	v_mov_b32_e32 v175, 0
	v_add_co_u32 v178, s26, s8, v239
	v_add_co_ci_u32_e64 v179, null, s9, 0, s26
	v_lshlrev_b64 v[84:85], 4, v[174:175]
	v_add_co_u32 v92, vcc_lo, s8, v84
	v_add_co_ci_u32_e32 v93, vcc_lo, s9, v85, vcc_lo
	v_add_co_u32 v176, vcc_lo, 0x1500, v178
	v_add_co_ci_u32_e32 v177, vcc_lo, 0, v179, vcc_lo
	;; [unrolled: 2-line block ×4, first 2 shown]
	s_clause 0x3
	global_load_dwordx4 v[100:103], v[176:177], off offset:16
	global_load_dwordx4 v[88:91], v[84:85], off offset:1280
	;; [unrolled: 1-line block ×4, first 2 shown]
	buffer_load_dword v86, off, s[28:31], 0 offset:68 ; 4-byte Folded Reload
	v_add_co_u32 v84, vcc_lo, 0x1540, v92
	v_add_co_ci_u32_e32 v85, vcc_lo, 0, v93, vcc_lo
	global_load_dwordx4 v[144:147], v[84:85], off offset:16
	s_waitcnt vmcnt(1)
	v_mul_i32_i24_e32 v174, 6, v86
	v_lshlrev_b64 v[84:85], 4, v[174:175]
	v_mul_i32_i24_e32 v174, 6, v244
	v_add_co_u32 v94, vcc_lo, s8, v84
	v_add_co_ci_u32_e32 v95, vcc_lo, s9, v85, vcc_lo
	v_lshlrev_b64 v[86:87], 4, v[174:175]
	v_add_co_u32 v84, vcc_lo, 0x1540, v94
	v_add_co_ci_u32_e32 v85, vcc_lo, 0, v95, vcc_lo
	v_add_co_u32 v184, vcc_lo, 0x1500, v92
	v_add_co_ci_u32_e32 v185, vcc_lo, 0, v93, vcc_lo
	s_clause 0x1
	global_load_dwordx4 v[152:155], v[84:85], off offset:16
	global_load_dwordx4 v[136:139], v[184:185], off offset:16
	v_add_co_u32 v84, vcc_lo, 0x1500, v94
	v_add_co_ci_u32_e32 v85, vcc_lo, 0, v95, vcc_lo
	v_add_co_u32 v92, vcc_lo, 0x1000, v94
	v_add_co_ci_u32_e32 v93, vcc_lo, 0, v95, vcc_lo
	;; [unrolled: 2-line block ×3, first 2 shown]
	s_clause 0x2
	global_load_dwordx4 v[140:143], v[84:85], off offset:16
	global_load_dwordx4 v[120:123], v[184:185], off offset:48
	global_load_dwordx4 v[112:115], v[84:85], off offset:48
	v_add_co_u32 v86, vcc_lo, 0x1000, v124
	v_add_co_ci_u32_e32 v87, vcc_lo, 0, v125, vcc_lo
	s_clause 0x4
	global_load_dwordx4 v[116:119], v[92:93], off offset:1280
	global_load_dwordx4 v[108:111], v[92:93], off offset:1344
	;; [unrolled: 1-line block ×5, first 2 shown]
	buffer_load_dword v86, off, s[28:31], 0 offset:60 ; 4-byte Folded Reload
	v_add_co_u32 v186, vcc_lo, 0x1500, v124
	v_add_co_ci_u32_e32 v187, vcc_lo, 0, v125, vcc_lo
	v_add_co_u32 v84, vcc_lo, 0x1540, v124
	v_add_co_ci_u32_e32 v85, vcc_lo, 0, v125, vcc_lo
	global_load_dwordx4 v[96:99], v[186:187], off offset:32
	ds_read2_b64 v[180:183], v229 offset0:125 offset1:174
	s_waitcnt lgkmcnt(0)
	v_mul_f64 v[194:195], v[102:103], v[182:183]
	v_mul_f64 v[182:183], v[100:101], v[182:183]
	;; [unrolled: 1-line block ×4, first 2 shown]
	v_fma_f64 v[100:101], v[78:79], v[100:101], -v[194:195]
	v_fma_f64 v[78:79], v[78:79], v[102:103], v[182:183]
	v_fma_f64 v[194:195], v[76:77], v[88:89], -v[196:197]
	v_fma_f64 v[196:197], v[76:77], v[90:91], v[198:199]
	s_waitcnt vmcnt(1)
	v_mul_i32_i24_e32 v174, 6, v86
	global_load_dwordx4 v[84:87], v[84:85], off offset:16
	v_lshlrev_b64 v[124:125], 4, v[174:175]
	v_mul_i32_i24_e32 v174, 6, v230
	v_add_co_u32 v188, vcc_lo, s8, v124
	v_add_co_ci_u32_e32 v189, vcc_lo, s9, v125, vcc_lo
	v_add_co_u32 v124, vcc_lo, 0x1540, v188
	v_add_co_ci_u32_e32 v125, vcc_lo, 0, v189, vcc_lo
	s_clause 0x1
	global_load_dwordx4 v[156:159], v[124:125], off offset:16
	global_load_dwordx4 v[124:127], v[176:177], off offset:32
	ds_read2_b64 v[190:193], v253 offset0:89 offset1:138
	buffer_store_dword v100, off, s[28:31], 0 offset:52 ; 4-byte Folded Spill
	buffer_store_dword v101, off, s[28:31], 0 offset:56 ; 4-byte Folded Spill
	;; [unrolled: 1-line block ×4, first 2 shown]
	ds_read2_b64 v[76:79], v220 offset0:127 offset1:176
	global_load_dwordx4 v[88:91], v[186:187], off offset:16
	v_add_co_u32 v200, vcc_lo, 0x1000, v178
	v_add_co_ci_u32_e32 v201, vcc_lo, 0, v179, vcc_lo
	v_mov_b32_e32 v181, v3
	v_mov_b32_e32 v180, v2
	v_mov_b32_e32 v179, v1
	global_load_dwordx4 v[100:103], v[200:201], off offset:1344
	v_mov_b32_e32 v178, v0
	v_mov_b32_e32 v0, v164
	;; [unrolled: 1-line block ×4, first 2 shown]
	s_waitcnt lgkmcnt(1)
	v_mul_f64 v[182:183], v[150:151], v[192:193]
	v_mul_f64 v[192:193], v[148:149], v[192:193]
	;; [unrolled: 1-line block ×4, first 2 shown]
	s_waitcnt lgkmcnt(0)
	v_mul_f64 v[202:203], v[152:153], v[76:77]
	v_fma_f64 v[182:183], v[74:75], v[148:149], -v[182:183]
	v_fma_f64 v[148:149], v[74:75], v[150:151], v[192:193]
	v_fma_f64 v[192:193], v[72:73], v[132:133], -v[198:199]
	v_mul_f64 v[132:133], v[146:147], v[78:79]
	v_mul_f64 v[78:79], v[144:145], v[78:79]
	;; [unrolled: 1-line block ×3, first 2 shown]
	v_fma_f64 v[154:155], v[80:81], v[154:155], v[202:203]
	v_fma_f64 v[190:191], v[72:73], v[134:135], v[190:191]
	v_add_co_u32 v150, vcc_lo, 0x1500, v188
	v_add_co_ci_u32_e32 v151, vcc_lo, 0, v189, vcc_lo
	v_add_co_u32 v188, vcc_lo, 0x1000, v188
	v_add_co_ci_u32_e32 v189, vcc_lo, 0, v189, vcc_lo
	global_load_dwordx4 v[72:75], v[150:151], off offset:16
	v_fma_f64 v[144:145], v[82:83], v[144:145], -v[132:133]
	v_fma_f64 v[146:147], v[82:83], v[146:147], v[78:79]
	ds_read2_b64 v[76:79], v214 offset0:163 offset1:212
	v_fma_f64 v[152:153], v[80:81], v[152:153], -v[198:199]
	s_clause 0x1
	global_load_dwordx4 v[80:83], v[184:185], off offset:32
	global_load_dwordx4 v[132:135], v[186:187], off offset:48
	s_waitcnt lgkmcnt(0)
	v_mul_f64 v[184:185], v[138:139], v[78:79]
	v_mul_f64 v[78:79], v[136:137], v[78:79]
	;; [unrolled: 1-line block ×4, first 2 shown]
	v_fma_f64 v[184:185], v[70:71], v[136:137], -v[184:185]
	v_fma_f64 v[202:203], v[70:71], v[138:139], v[78:79]
	ds_read2_b64 v[76:79], v252 offset0:81 offset1:130
	v_fma_f64 v[186:187], v[68:69], v[140:141], -v[186:187]
	ds_read2_b64 v[136:139], v229 offset0:27 offset1:76
	v_fma_f64 v[142:143], v[68:69], v[142:143], v[198:199]
	ds_read2_b64 v[68:71], v162 offset0:119 offset1:168
	s_waitcnt lgkmcnt(2)
	v_mul_f64 v[140:141], v[122:123], v[78:79]
	v_mul_f64 v[78:79], v[120:121], v[78:79]
	;; [unrolled: 1-line block ×4, first 2 shown]
	v_fma_f64 v[204:205], v[66:67], v[120:121], -v[140:141]
	v_fma_f64 v[206:207], v[66:67], v[122:123], v[78:79]
	s_waitcnt lgkmcnt(1)
	v_mul_f64 v[78:79], v[118:119], v[138:139]
	v_mul_f64 v[120:121], v[116:117], v[138:139]
	;; [unrolled: 1-line block ×4, first 2 shown]
	v_fma_f64 v[112:113], v[64:65], v[112:113], -v[198:199]
	v_fma_f64 v[114:115], v[64:65], v[114:115], v[76:77]
	s_waitcnt lgkmcnt(0)
	v_mul_f64 v[76:77], v[110:111], v[70:71]
	v_mul_f64 v[122:123], v[108:109], v[70:71]
	;; [unrolled: 1-line block ×4, first 2 shown]
	s_clause 0x1
	global_load_dwordx4 v[64:67], v[150:151], off offset:48
	global_load_dwordx4 v[68:71], v[188:189], off offset:1280
	v_fma_f64 v[116:117], v[62:63], v[116:117], -v[78:79]
	v_fma_f64 v[118:119], v[62:63], v[118:119], v[120:121]
	v_fma_f64 v[208:209], v[60:61], v[128:129], -v[138:139]
	v_fma_f64 v[210:211], v[60:61], v[130:131], v[136:137]
	ds_read2_b64 v[60:63], v217 offset0:201 offset1:250
	v_lshlrev_b64 v[78:79], 4, v[174:175]
	v_fma_f64 v[108:109], v[58:59], v[108:109], -v[76:77]
	v_fma_f64 v[110:111], v[58:59], v[110:111], v[122:123]
	v_fma_f64 v[104:105], v[56:57], v[104:105], -v[140:141]
	v_fma_f64 v[106:107], v[56:57], v[106:107], v[198:199]
	ds_read2_b64 v[56:59], v247 offset0:157 offset1:206
	v_add_co_u32 v136, vcc_lo, s8, v78
	v_add_co_ci_u32_e32 v137, vcc_lo, s9, v79, vcc_lo
	v_add_co_u32 v120, vcc_lo, 0x1000, v136
	v_add_co_ci_u32_e32 v121, vcc_lo, 0, v137, vcc_lo
	global_load_dwordx4 v[76:79], v[120:121], off offset:1280
	s_waitcnt vmcnt(11) lgkmcnt(1)
	v_mul_f64 v[128:129], v[98:99], v[60:61]
	v_mul_f64 v[122:123], v[94:95], v[62:63]
	;; [unrolled: 1-line block ×4, first 2 shown]
	buffer_store_dword v212, off, s[28:31], 0 offset:44 ; 4-byte Folded Spill
	buffer_store_dword v213, off, s[28:31], 0 offset:48 ; 4-byte Folded Spill
	v_fma_f64 v[96:97], v[52:53], v[96:97], -v[128:129]
	v_fma_f64 v[198:199], v[54:55], v[92:93], -v[122:123]
	v_fma_f64 v[212:213], v[54:55], v[94:95], v[62:63]
	s_clause 0x1
	global_load_dwordx4 v[60:63], v[188:189], off offset:1344
	global_load_dwordx4 v[92:95], v[120:121], off offset:1344
	v_fma_f64 v[98:99], v[52:53], v[98:99], v[130:131]
	global_load_dwordx4 v[52:55], v[150:151], off offset:32
	v_add_co_u32 v122, vcc_lo, 0x1500, v136
	v_add_co_ci_u32_e32 v123, vcc_lo, 0, v137, vcc_lo
	s_waitcnt vmcnt(13) lgkmcnt(0)
	v_mul_f64 v[120:121], v[86:87], v[58:59]
	v_mul_f64 v[58:59], v[84:85], v[58:59]
	s_waitcnt vmcnt(12)
	v_mul_f64 v[128:129], v[158:159], v[56:57]
	v_mul_f64 v[130:131], v[156:157], v[56:57]
	v_fma_f64 v[84:85], v[50:51], v[84:85], -v[120:121]
	v_fma_f64 v[86:87], v[50:51], v[86:87], v[58:59]
	global_load_dwordx4 v[56:59], v[122:123], off offset:32
	v_fma_f64 v[150:151], v[48:49], v[156:157], -v[128:129]
	buffer_load_dword v128, off, s[28:31], 0 offset:128 ; 4-byte Folded Reload
	v_fma_f64 v[156:157], v[48:49], v[158:159], v[130:131]
	ds_read2_b64 v[48:51], v214 offset0:65 offset1:114
	s_waitcnt vmcnt(12) lgkmcnt(0)
	v_mul_f64 v[120:121], v[90:91], v[50:51]
	v_mul_f64 v[50:51], v[88:89], v[50:51]
	s_waitcnt vmcnt(10)
	v_mul_f64 v[130:131], v[72:73], v[48:49]
	v_fma_f64 v[88:89], v[46:47], v[88:89], -v[120:121]
	v_fma_f64 v[90:91], v[46:47], v[90:91], v[50:51]
	s_waitcnt vmcnt(0)
	v_mul_i32_i24_e32 v174, 6, v128
	v_mul_f64 v[128:129], v[74:75], v[48:49]
	ds_read2_b64 v[46:49], v163 offset0:111 offset1:160
	v_lshlrev_b64 v[50:51], 4, v[174:175]
	v_fma_f64 v[174:175], v[44:45], v[74:75], v[130:131]
	v_add_co_u32 v138, vcc_lo, s8, v50
	v_add_co_ci_u32_e32 v139, vcc_lo, s9, v51, vcc_lo
	v_add_co_u32 v50, vcc_lo, 0x1540, v136
	v_add_co_ci_u32_e32 v51, vcc_lo, 0, v137, vcc_lo
	;; [unrolled: 2-line block ×3, first 2 shown]
	v_fma_f64 v[158:159], v[44:45], v[72:73], -v[128:129]
	global_load_dwordx4 v[72:75], v[50:51], off offset:16
	s_waitcnt lgkmcnt(0)
	v_mul_f64 v[44:45], v[134:135], v[48:49]
	v_mul_f64 v[128:129], v[132:133], v[48:49]
	v_mov_b32_e32 v136, v215
	global_load_dwordx4 v[48:51], v[120:121], off offset:16
	v_mov_b32_e32 v137, v216
	v_fma_f64 v[188:189], v[42:43], v[132:133], -v[44:45]
	v_fma_f64 v[214:215], v[42:43], v[134:135], v[128:129]
	global_load_dwordx4 v[42:45], v[200:201], off offset:1280
	v_mul_f64 v[120:121], v[66:67], v[46:47]
	v_mul_f64 v[46:47], v[64:65], v[46:47]
	v_fma_f64 v[200:201], v[40:41], v[64:65], -v[120:121]
	v_fma_f64 v[216:217], v[40:41], v[66:67], v[46:47]
	ds_read2_b64 v[64:67], v238 offset0:185 offset1:234
	s_waitcnt lgkmcnt(0)
	v_mul_f64 v[46:47], v[68:69], v[66:67]
	v_mul_f64 v[40:41], v[70:71], v[66:67]
	v_mul_f64 v[120:121], v[76:77], v[64:65]
	v_fma_f64 v[70:71], v[38:39], v[70:71], v[46:47]
	v_mul_f64 v[46:47], v[78:79], v[64:65]
	ds_read2_b64 v[64:67], v162 offset0:21 offset1:70
	v_fma_f64 v[222:223], v[36:37], v[78:79], v[120:121]
	v_fma_f64 v[68:69], v[38:39], v[68:69], -v[40:41]
	global_load_dwordx4 v[38:41], v[122:123], off offset:48
	s_waitcnt lgkmcnt(0)
	v_mul_f64 v[78:79], v[92:93], v[64:65]
	v_fma_f64 v[220:221], v[36:37], v[76:77], -v[46:47]
	v_mul_f64 v[46:47], v[60:61], v[66:67]
	v_mul_f64 v[36:37], v[62:63], v[66:67]
	;; [unrolled: 1-line block ×3, first 2 shown]
	ds_read2_b64 v[64:67], v164 offset0:103 offset1:152
	v_fma_f64 v[232:233], v[32:33], v[94:95], v[78:79]
	v_add_f64 v[94:95], v[214:215], -v[98:99]
	v_fma_f64 v[226:227], v[34:35], v[62:63], v[46:47]
	v_add_co_u32 v46, vcc_lo, 0x1000, v138
	v_add_co_ci_u32_e32 v47, vcc_lo, 0, v139, vcc_lo
	v_fma_f64 v[224:225], v[34:35], v[60:61], -v[36:37]
	global_load_dwordx4 v[34:37], v[122:123], off offset:16
	v_fma_f64 v[229:230], v[32:33], v[92:93], -v[76:77]
	global_load_dwordx4 v[60:63], v[46:47], off offset:1280
	s_waitcnt lgkmcnt(0)
	v_mul_f64 v[32:33], v[54:55], v[66:67]
	v_mul_f64 v[66:67], v[52:53], v[66:67]
	;; [unrolled: 1-line block ×4, first 2 shown]
	global_load_dwordx4 v[120:123], v[176:177], off offset:48
	v_add_f64 v[92:93], v[188:189], v[96:97]
	v_fma_f64 v[78:79], v[30:31], v[52:53], -v[32:33]
	v_fma_f64 v[66:67], v[30:31], v[54:55], v[66:67]
	global_load_dwordx4 v[30:33], v[46:47], off offset:1344
	ds_read2_b64 v[52:55], v247 offset0:59 offset1:108
	v_fma_f64 v[234:235], v[28:29], v[56:57], -v[76:77]
	v_fma_f64 v[236:237], v[28:29], v[58:59], v[64:65]
	v_add_f64 v[64:65], v[208:209], -v[84:85]
	v_add_f64 v[84:85], v[208:209], v[84:85]
	s_waitcnt vmcnt(7) lgkmcnt(0)
	v_mul_f64 v[28:29], v[74:75], v[54:55]
	v_mul_f64 v[46:47], v[72:73], v[54:55]
	s_waitcnt vmcnt(6)
	v_mul_f64 v[56:57], v[50:51], v[52:53]
	v_mul_f64 v[58:59], v[48:49], v[52:53]
	ds_read2_b64 v[52:55], v238 offset0:87 offset1:136
	v_fma_f64 v[238:239], v[26:27], v[72:73], -v[28:29]
	v_fma_f64 v[240:241], v[26:27], v[74:75], v[46:47]
	v_add_f64 v[74:75], v[214:215], v[98:99]
	s_waitcnt vmcnt(5) lgkmcnt(0)
	v_mul_f64 v[28:29], v[44:45], v[52:53]
	v_mul_f64 v[46:47], v[42:43], v[52:53]
	v_fma_f64 v[242:243], v[24:25], v[50:51], v[58:59]
	v_fma_f64 v[176:177], v[24:25], v[48:49], -v[56:57]
	v_add_co_u32 v48, vcc_lo, 0x1500, v138
	v_add_co_ci_u32_e32 v49, vcc_lo, 0, v139, vcc_lo
	v_add_f64 v[52:53], v[114:115], -v[212:213]
	v_add_f64 v[58:59], v[188:189], -v[96:97]
	global_load_dwordx4 v[24:27], v[48:49], off offset:16
	v_fma_f64 v[218:219], v[20:21], v[42:43], -v[28:29]
	v_fma_f64 v[132:133], v[20:21], v[44:45], v[46:47]
	global_load_dwordx4 v[42:45], v[48:49], off offset:48
	s_waitcnt vmcnt(4)
	v_mul_f64 v[20:21], v[62:63], v[54:55]
	v_mul_f64 v[28:29], v[60:61], v[54:55]
	v_add_f64 v[54:55], v[142:143], -v[110:111]
	v_fma_f64 v[244:245], v[22:23], v[60:61], -v[20:21]
	v_fma_f64 v[246:247], v[22:23], v[62:63], v[28:29]
	ds_read2_b64 v[20:23], v252 offset0:179 offset1:228
	v_add_f64 v[60:61], v[88:89], -v[104:105]
	v_add_f64 v[88:89], v[88:89], v[104:105]
	v_add_f64 v[62:63], v[210:211], v[86:87]
	v_add_f64 v[86:87], v[210:211], -v[86:87]
	s_waitcnt lgkmcnt(0)
	v_mul_f64 v[28:29], v[102:103], v[20:21]
	v_mul_f64 v[20:21], v[100:101], v[20:21]
	s_waitcnt vmcnt(2)
	v_mul_f64 v[50:51], v[30:31], v[22:23]
	v_mul_f64 v[46:47], v[32:33], v[22:23]
	v_fma_f64 v[248:249], v[16:17], v[100:101], -v[28:29]
	v_fma_f64 v[134:135], v[16:17], v[102:103], v[20:21]
	ds_read2_b64 v[128:131], v160 offset0:43 offset1:92
	ds_read2_b64 v[20:23], v161 offset0:95 offset1:144
	v_fma_f64 v[252:253], v[18:19], v[32:33], v[50:51]
	buffer_load_dword v33, off, s[28:31], 0 offset:124 ; 4-byte Folded Reload
	v_fma_f64 v[250:251], v[18:19], v[30:31], -v[46:47]
	v_mul_i32_i24_e32 v32, 0xffffffd0, v228
	global_load_dwordx4 v[138:141], v[48:49], off offset:32
	v_add_f64 v[48:49], v[202:203], v[190:191]
	v_add_f64 v[50:51], v[202:203], -v[190:191]
	buffer_load_dword v2, off, s[28:31], 0 offset:20 ; 4-byte Folded Reload
	s_waitcnt lgkmcnt(1)
	v_mul_f64 v[16:17], v[82:83], v[128:129]
	v_mul_f64 v[18:19], v[80:81], v[128:129]
	s_waitcnt lgkmcnt(0)
	v_mul_f64 v[28:29], v[36:37], v[22:23]
	v_mul_f64 v[22:23], v[34:35], v[22:23]
	v_fma_f64 v[30:31], v[4:5], v[80:81], -v[16:17]
	v_fma_f64 v[4:5], v[4:5], v[82:83], v[18:19]
	ds_read2_b64 v[16:19], v160 offset0:141 offset1:190
	v_fma_f64 v[254:255], v[10:11], v[36:37], v[22:23]
	v_fma_f64 v[128:129], v[10:11], v[34:35], -v[28:29]
	v_add_f64 v[34:35], v[184:185], v[192:193]
	s_waitcnt lgkmcnt(0)
	v_mul_f64 v[22:23], v[40:41], v[18:19]
	v_mul_f64 v[18:19], v[38:39], v[18:19]
	v_add_f64 v[36:37], v[204:205], -v[30:31]
	v_add_f64 v[46:47], v[206:207], v[4:5]
	v_add_f64 v[4:5], v[206:207], -v[4:5]
	v_add_f64 v[30:31], v[204:205], v[30:31]
	v_add_f64 v[206:207], v[246:247], -v[242:243]
	v_fma_f64 v[160:161], v[14:15], v[38:39], -v[22:23]
	v_fma_f64 v[162:163], v[14:15], v[40:41], v[18:19]
	v_add_f64 v[38:39], v[196:197], v[146:147]
	v_add_f64 v[18:19], v[194:195], -v[144:145]
	v_add_f64 v[22:23], v[194:195], v[144:145]
	v_add_f64 v[40:41], v[196:197], -v[146:147]
	;; [unrolled: 2-line block ×3, first 2 shown]
	v_add_f64 v[194:195], v[222:223], v[240:241]
	v_add_f64 v[196:197], v[254:255], v[232:233]
	;; [unrolled: 1-line block ×3, first 2 shown]
	v_add_f64 v[82:83], v[38:39], -v[46:47]
	v_add_f64 v[76:77], v[22:23], v[34:35]
	v_add_f64 v[100:101], v[18:19], -v[36:37]
	v_add_f64 v[38:39], v[48:49], -v[38:39]
	v_add_f64 v[104:105], v[22:23], -v[30:31]
	v_add_f64 v[22:23], v[34:35], -v[22:23]
	v_add_f64 v[34:35], v[30:31], -v[34:35]
	v_add_f64 v[46:47], v[46:47], v[72:73]
	v_add_f64 v[72:73], v[40:41], -v[4:5]
	v_add_f64 v[30:31], v[30:31], v[76:77]
	v_add_f64 v[4:5], v[4:5], -v[50:51]
	v_add_f64 v[50:51], v[50:51], -v[40:41]
	v_add_f64 v[40:41], v[40:41], v[80:81]
	v_mul_f64 v[34:35], v[34:35], s[24:25]
	s_waitcnt vmcnt(4)
	v_mul_f64 v[10:11], v[26:27], v[20:21]
	v_mul_f64 v[20:21], v[24:25], v[20:21]
	s_waitcnt vmcnt(3)
	v_mul_f64 v[28:29], v[44:45], v[16:17]
	v_mul_f64 v[16:17], v[42:43], v[16:17]
	;; [unrolled: 1-line block ×3, first 2 shown]
	v_fma_f64 v[190:191], v[8:9], v[26:27], v[20:21]
	v_add_f64 v[20:21], v[142:143], v[110:111]
	v_add_f64 v[26:27], v[116:117], v[152:153]
	v_fma_f64 v[146:147], v[12:13], v[42:43], -v[28:29]
	v_add_f64 v[28:29], v[186:187], v[108:109]
	v_add_f64 v[42:43], v[112:113], v[198:199]
	;; [unrolled: 1-line block ×3, first 2 shown]
	s_waitcnt vmcnt(2)
	v_add_nc_u32_e32 v32, v33, v32
	ds_read_b64 v[14:15], v32
	v_add_f64 v[32:33], v[184:185], -v[192:193]
	v_fma_f64 v[184:185], v[8:9], v[24:25], -v[10:11]
	v_fma_f64 v[192:193], v[12:13], v[44:45], v[16:17]
	v_add_f64 v[10:11], v[112:113], -v[198:199]
	v_add_f64 v[12:13], v[186:187], -v[108:109]
	v_add_f64 v[16:17], v[118:119], v[154:155]
	v_add_f64 v[8:9], v[116:117], -v[152:153]
	v_add_f64 v[24:25], v[114:115], v[212:213]
	v_add_f64 v[44:45], v[118:119], -v[154:155]
	v_add_f64 v[114:115], v[90:91], v[106:107]
	v_add_f64 v[90:91], v[90:91], -v[106:107]
	v_add_f64 v[116:117], v[64:65], -v[58:59]
	v_add_f64 v[56:57], v[36:37], v[32:33]
	v_add_f64 v[36:37], v[36:37], -v[32:33]
	v_add_f64 v[32:33], v[32:33], -v[18:19]
	v_add_f64 v[96:97], v[10:11], v[12:13]
	v_add_f64 v[102:103], v[16:17], v[20:21]
	v_add_f64 v[76:77], v[8:9], -v[10:11]
	v_add_f64 v[10:11], v[10:11], -v[12:13]
	v_add_f64 v[12:13], v[12:13], -v[8:9]
	v_add_f64 v[80:81], v[16:17], -v[24:25]
	v_add_f64 v[108:109], v[44:45], -v[52:53]
	v_add_f64 v[142:143], v[94:95], v[90:91]
	v_add_f64 v[56:57], v[18:19], v[56:57]
	;; [unrolled: 1-line block ×3, first 2 shown]
	v_add_f64 v[52:53], v[52:53], -v[54:55]
	v_add_f64 v[54:55], v[54:55], -v[44:45]
	v_add_f64 v[8:9], v[8:9], v[96:97]
	v_add_f64 v[96:97], v[20:21], -v[16:17]
	v_add_f64 v[20:21], v[24:25], -v[20:21]
	v_add_f64 v[24:25], v[24:25], v[102:103]
	v_add_f64 v[102:103], v[26:27], -v[42:43]
	v_add_f64 v[26:27], v[28:29], -v[26:27]
	;; [unrolled: 1-line block ×3, first 2 shown]
	v_add_f64 v[42:43], v[42:43], v[48:49]
	v_mul_f64 v[48:49], v[98:99], s[24:25]
	v_mul_f64 v[36:37], v[36:37], s[22:23]
	;; [unrolled: 1-line block ×4, first 2 shown]
	v_add_f64 v[16:17], v[172:173], v[30:31]
	v_add_f64 v[44:45], v[44:45], v[18:19]
	s_waitcnt lgkmcnt(0)
	v_add_f64 v[18:19], v[14:15], v[46:47]
	v_mul_f64 v[14:15], v[82:83], s[10:11]
	v_mul_f64 v[20:21], v[20:21], s[24:25]
	v_fma_f64 v[82:83], v[82:83], s[10:11], v[48:49]
	v_fma_f64 v[112:113], v[96:97], s[16:17], -v[112:113]
	v_fma_f64 v[30:31], v[30:31], s[14:15], v[16:17]
	v_fma_f64 v[46:47], v[46:47], s[14:15], v[18:19]
	v_fma_f64 v[14:15], v[38:39], s[16:17], -v[14:15]
	v_fma_f64 v[38:39], v[38:39], s[6:7], -v[48:49]
	v_mul_f64 v[48:49], v[32:33], s[4:5]
	v_fma_f64 v[32:33], v[32:33], s[4:5], -v[36:37]
	v_fma_f64 v[80:81], v[80:81], s[10:11], v[20:21]
	v_fma_f64 v[20:21], v[96:97], s[6:7], -v[20:21]
	v_mul_f64 v[96:97], v[12:13], s[4:5]
	v_add_f64 v[38:39], v[38:39], v[46:47]
	v_fma_f64 v[98:99], v[100:101], s[20:21], -v[48:49]
	v_fma_f64 v[100:101], v[100:101], s[18:19], v[36:37]
	v_mul_f64 v[36:37], v[104:105], s[10:11]
	v_fma_f64 v[104:105], v[104:105], s[10:11], v[34:35]
	buffer_load_dword v48, off, s[28:31], 0 ; 4-byte Folded Reload
	v_fma_f64 v[96:97], v[76:77], s[20:21], -v[96:97]
	v_fma_f64 v[76:77], v[76:77], s[18:19], v[10:11]
	v_fma_f64 v[10:11], v[12:13], s[4:5], -v[10:11]
	v_mul_f64 v[12:13], v[28:29], s[24:25]
	v_mul_f64 v[28:29], v[102:103], s[10:11]
	v_fma_f64 v[32:33], v[56:57], s[0:1], v[32:33]
	v_fma_f64 v[98:99], v[56:57], s[0:1], v[98:99]
	v_fma_f64 v[36:37], v[22:23], s[16:17], -v[36:37]
	v_fma_f64 v[22:23], v[22:23], s[6:7], -v[34:35]
	v_mul_f64 v[34:35], v[50:51], s[4:5]
	v_fma_f64 v[96:97], v[8:9], s[0:1], v[96:97]
	v_fma_f64 v[76:77], v[8:9], s[0:1], v[76:77]
	;; [unrolled: 1-line block ×3, first 2 shown]
	v_fma_f64 v[28:29], v[26:27], s[16:17], -v[28:29]
	v_fma_f64 v[12:13], v[26:27], s[6:7], -v[12:13]
	v_mul_f64 v[26:27], v[52:53], s[22:23]
	v_mul_f64 v[52:53], v[54:55], s[4:5]
	v_add_f64 v[36:37], v[36:37], v[30:31]
	v_add_f64 v[22:23], v[22:23], v[30:31]
	v_fma_f64 v[34:35], v[72:73], s[20:21], -v[34:35]
	v_fma_f64 v[72:73], v[72:73], s[18:19], v[4:5]
	v_fma_f64 v[4:5], v[50:51], s[4:5], -v[4:5]
	buffer_load_dword v50, off, s[28:31], 0 offset:28 ; 4-byte Folded Reload
	v_fma_f64 v[106:107], v[108:109], s[18:19], v[26:27]
	v_fma_f64 v[52:53], v[108:109], s[20:21], -v[52:53]
	v_fma_f64 v[26:27], v[54:55], s[4:5], -v[26:27]
	v_fma_f64 v[54:55], v[56:57], s[0:1], v[100:101]
	v_add_f64 v[56:57], v[58:59], -v[60:61]
	v_fma_f64 v[100:101], v[8:9], s[0:1], v[10:11]
	v_add_f64 v[8:9], v[74:75], -v[114:115]
	v_add_f64 v[108:109], v[58:59], v[60:61]
	v_fma_f64 v[34:35], v[40:41], s[0:1], v[34:35]
	v_fma_f64 v[72:73], v[40:41], s[0:1], v[72:73]
	;; [unrolled: 1-line block ×3, first 2 shown]
	v_add_f64 v[40:41], v[62:63], v[114:115]
	v_fma_f64 v[58:59], v[44:45], s[0:1], v[26:27]
	v_add_f64 v[26:27], v[32:33], v[38:39]
	v_mul_f64 v[144:145], v[56:57], s[22:23]
	v_mul_f64 v[152:153], v[8:9], s[24:25]
	v_add_f64 v[118:119], v[74:75], v[40:41]
	v_add_f64 v[74:75], v[62:63], -v[74:75]
	s_waitcnt vmcnt(1)
	ds_read_b64 v[48:49], v48
	s_waitcnt vmcnt(0)
	ds_read_b64 v[110:111], v50
	s_waitcnt lgkmcnt(1)
	v_add_f64 v[50:51], v[48:49], v[24:25]
	v_add_f64 v[48:49], v[170:171], v[42:43]
	v_fma_f64 v[10:11], v[24:25], s[14:15], v[50:51]
	v_fma_f64 v[24:25], v[42:43], s[14:15], v[48:49]
	v_add_f64 v[42:43], v[82:83], v[46:47]
	v_add_f64 v[82:83], v[14:15], v[46:47]
	;; [unrolled: 1-line block ×3, first 2 shown]
	v_add_f64 v[104:105], v[60:61], -v[64:65]
	v_add_f64 v[14:15], v[84:85], v[88:89]
	v_fma_f64 v[60:61], v[44:45], s[0:1], v[106:107]
	v_fma_f64 v[106:107], v[44:45], s[0:1], v[52:53]
	v_add_f64 v[64:65], v[64:65], v[108:109]
	v_add_f64 v[108:109], v[158:159], v[224:225]
	;; [unrolled: 1-line block ×9, first 2 shown]
	v_add_f64 v[24:25], v[22:23], -v[4:5]
	v_add_f64 v[22:23], v[98:99], v[82:83]
	v_add_f64 v[30:31], v[82:83], -v[98:99]
	v_mul_f64 v[4:5], v[104:105], s[4:5]
	s_waitcnt lgkmcnt(0)
	v_add_f64 v[82:83], v[110:111], v[118:119]
	v_add_f64 v[154:155], v[92:93], v[14:15]
	v_add_f64 v[14:15], v[38:39], -v[32:33]
	v_add_f64 v[20:21], v[36:37], -v[34:35]
	v_add_f64 v[28:29], v[34:35], v[36:37]
	v_add_f64 v[10:11], v[54:55], v[42:43]
	v_add_f64 v[8:9], v[46:47], -v[72:73]
	v_add_f64 v[34:35], v[42:43], -v[54:55]
	v_add_f64 v[32:33], v[72:73], v[46:47]
	v_add_f64 v[72:73], v[114:115], -v[62:63]
	v_add_f64 v[98:99], v[84:85], -v[92:93]
	;; [unrolled: 1-line block ×3, first 2 shown]
	v_add_f64 v[40:41], v[58:59], v[52:53]
	v_add_f64 v[54:55], v[100:101], v[44:45]
	v_add_f64 v[52:53], v[52:53], -v[58:59]
	v_add_f64 v[46:47], v[96:97], v[56:57]
	v_add_f64 v[44:45], v[112:113], -v[106:107]
	v_add_f64 v[58:59], v[56:57], -v[96:97]
	v_add_f64 v[56:57], v[106:107], v[112:113]
	v_add_f64 v[38:39], v[76:77], v[80:81]
	v_add_f64 v[36:37], v[102:103], -v[60:61]
	v_add_f64 v[62:63], v[80:81], -v[76:77]
	v_add_f64 v[60:61], v[60:61], v[102:103]
	v_mul_f64 v[76:77], v[74:75], s[10:11]
	v_fma_f64 v[96:97], v[116:117], s[18:19], v[144:145]
	v_fma_f64 v[74:75], v[74:75], s[10:11], v[152:153]
	v_add_f64 v[92:93], v[92:93], -v[88:89]
	v_fma_f64 v[4:5], v[116:117], s[20:21], -v[4:5]
	v_add_f64 v[100:101], v[86:87], -v[94:95]
	v_add_f64 v[94:95], v[94:95], -v[90:91]
	v_add_f64 v[102:103], v[86:87], v[142:143]
	v_add_f64 v[84:85], v[88:89], -v[84:85]
	v_add_f64 v[88:89], v[70:71], v[156:157]
	;; [unrolled: 2-line block ×3, first 2 shown]
	v_fma_f64 v[104:105], v[104:105], s[4:5], -v[144:145]
	v_add_f64 v[106:107], v[68:69], v[150:151]
	v_fma_f64 v[110:111], v[118:119], s[14:15], v[82:83]
	v_add_f64 v[114:115], v[158:159], -v[224:225]
	v_add_f64 v[116:117], v[200:201], -v[78:79]
	;; [unrolled: 1-line block ×3, first 2 shown]
	v_add_f64 v[112:113], v[216:217], v[66:67]
	v_add_f64 v[78:79], v[200:201], v[78:79]
	;; [unrolled: 1-line block ×3, first 2 shown]
	v_add_f64 v[66:67], v[216:217], -v[66:67]
	v_fma_f64 v[76:77], v[72:73], s[16:17], -v[76:77]
	v_fma_f64 v[72:73], v[72:73], s[6:7], -v[152:153]
	v_fma_f64 v[96:97], v[64:65], s[0:1], v[96:97]
	v_mul_f64 v[92:93], v[92:93], s[24:25]
	v_fma_f64 v[4:5], v[64:65], s[0:1], v[4:5]
	v_add_f64 v[144:145], v[174:175], -v[226:227]
	v_mul_f64 v[94:95], v[94:95], s[22:23]
	v_mul_f64 v[150:151], v[98:99], s[10:11]
	v_add_f64 v[70:71], v[70:71], -v[156:157]
	v_add_f64 v[118:119], v[88:89], v[90:91]
	v_fma_f64 v[64:65], v[64:65], s[0:1], v[104:105]
	v_add_f64 v[142:143], v[106:107], v[108:109]
	v_add_f64 v[152:153], v[74:75], v[110:111]
	v_mul_f64 v[74:75], v[86:87], s[4:5]
	v_add_f64 v[104:105], v[116:117], v[114:115]
	v_add_f64 v[168:169], v[114:115], -v[68:69]
	v_add_f64 v[156:157], v[88:89], -v[112:113]
	;; [unrolled: 1-line block ×3, first 2 shown]
	v_fma_f64 v[154:155], v[154:155], s[14:15], v[80:81]
	v_add_f64 v[158:159], v[76:77], v[110:111]
	v_add_f64 v[76:77], v[72:73], v[110:111]
	v_add_f64 v[72:73], v[112:113], -v[90:91]
	v_fma_f64 v[98:99], v[98:99], s[10:11], v[92:93]
	v_add_f64 v[90:91], v[116:117], -v[114:115]
	v_fma_f64 v[86:87], v[86:87], s[4:5], -v[94:95]
	v_fma_f64 v[150:151], v[84:85], s[16:17], -v[150:151]
	;; [unrolled: 1-line block ×3, first 2 shown]
	v_add_f64 v[92:93], v[66:67], v[144:145]
	v_add_f64 v[110:111], v[112:113], v[118:119]
	;; [unrolled: 1-line block ×3, first 2 shown]
	buffer_load_dword v142, off, s[28:31], 0 offset:40 ; 4-byte Folded Reload
	v_fma_f64 v[74:75], v[100:101], s[20:21], -v[74:75]
	v_fma_f64 v[100:101], v[100:101], s[18:19], v[94:95]
	v_add_f64 v[94:95], v[68:69], -v[116:117]
	v_add_f64 v[68:69], v[68:69], v[104:105]
	buffer_load_dword v104, off, s[28:31], 0 offset:24 ; 4-byte Folded Reload
	v_mul_f64 v[116:117], v[156:157], s[10:11]
	v_mul_f64 v[72:73], v[72:73], s[24:25]
	v_add_f64 v[98:99], v[98:99], v[154:155]
	v_mul_f64 v[90:91], v[90:91], s[22:23]
	v_fma_f64 v[86:87], v[102:103], s[0:1], v[86:87]
	v_add_f64 v[150:151], v[150:151], v[154:155]
	v_add_f64 v[84:85], v[84:85], v[154:155]
	;; [unrolled: 1-line block ×4, first 2 shown]
	v_fma_f64 v[166:167], v[102:103], s[0:1], v[74:75]
	v_fma_f64 v[100:101], v[102:103], s[0:1], v[100:101]
	v_fma_f64 v[116:117], v[88:89], s[16:17], -v[116:117]
	v_fma_f64 v[118:119], v[118:119], s[14:15], v[112:113]
	s_waitcnt vmcnt(1)
	ds_read_b64 v[142:143], v142
	s_waitcnt vmcnt(0)
	ds_read_b64 v[170:171], v104
	v_add_f64 v[104:105], v[106:107], -v[78:79]
	v_add_f64 v[78:79], v[78:79], -v[108:109]
	;; [unrolled: 1-line block ×6, first 2 shown]
	s_waitcnt lgkmcnt(1)
	v_add_f64 v[114:115], v[142:143], v[110:111]
	v_fma_f64 v[142:143], v[156:157], s[10:11], v[72:73]
	v_fma_f64 v[72:73], v[88:89], s[6:7], -v[72:73]
	v_mul_f64 v[88:89], v[168:169], s[4:5]
	v_mul_f64 v[144:145], v[104:105], s[10:11]
	;; [unrolled: 1-line block ×4, first 2 shown]
	v_fma_f64 v[110:111], v[110:111], s[14:15], v[114:115]
	v_fma_f64 v[88:89], v[94:95], s[20:21], -v[88:89]
	v_fma_f64 v[94:95], v[94:95], s[18:19], v[90:91]
	v_fma_f64 v[90:91], v[168:169], s[4:5], -v[90:91]
	v_fma_f64 v[144:145], v[106:107], s[16:17], -v[144:145]
	v_fma_f64 v[104:105], v[104:105], s[10:11], v[78:79]
	v_fma_f64 v[78:79], v[106:107], s[6:7], -v[78:79]
	v_mul_f64 v[106:107], v[70:71], s[4:5]
	v_fma_f64 v[156:157], v[70:71], s[4:5], -v[66:67]
	v_add_f64 v[70:71], v[4:5], v[158:159]
	v_add_f64 v[142:143], v[142:143], v[110:111]
	;; [unrolled: 1-line block ×5, first 2 shown]
	v_fma_f64 v[154:155], v[68:69], s[0:1], v[94:95]
	v_fma_f64 v[94:95], v[68:69], s[0:1], v[90:91]
	v_add_f64 v[90:91], v[152:153], -v[96:97]
	v_add_f64 v[144:145], v[144:145], v[118:119]
	v_add_f64 v[186:187], v[104:105], v[118:119]
	;; [unrolled: 1-line block ×3, first 2 shown]
	v_fma_f64 v[74:75], v[108:109], s[20:21], -v[106:107]
	v_fma_f64 v[106:107], v[108:109], s[18:19], v[66:67]
	v_fma_f64 v[108:109], v[68:69], s[0:1], v[88:89]
	v_add_f64 v[66:67], v[96:97], v[152:153]
	v_fma_f64 v[156:157], v[92:93], s[0:1], v[156:157]
	v_add_f64 v[78:79], v[64:65], v[76:77]
	v_add_f64 v[88:89], v[100:101], v[98:99]
	v_add_f64 v[152:153], v[160:161], -v[234:235]
	v_add_f64 v[68:69], v[150:151], -v[166:167]
	;; [unrolled: 1-line block ×4, first 2 shown]
	v_fma_f64 v[174:175], v[92:93], s[0:1], v[74:75]
	v_add_f64 v[74:75], v[76:77], -v[64:65]
	v_fma_f64 v[188:189], v[92:93], s[0:1], v[106:107]
	v_add_f64 v[76:77], v[84:85], -v[86:87]
	v_add_f64 v[86:87], v[158:159], -v[4:5]
	v_add_f64 v[158:159], v[128:129], v[229:230]
	v_add_f64 v[64:65], v[98:99], -v[100:101]
	v_add_f64 v[98:99], v[154:155], v[142:143]
	;; [unrolled: 2-line block ×3, first 2 shown]
	v_add_f64 v[154:155], v[162:163], v[236:237]
	v_add_f64 v[106:107], v[94:95], v[168:169]
	;; [unrolled: 1-line block ×3, first 2 shown]
	v_add_f64 v[110:111], v[116:117], -v[108:109]
	v_add_f64 v[84:85], v[166:167], v[150:151]
	v_add_f64 v[150:151], v[220:221], v[238:239]
	;; [unrolled: 1-line block ×3, first 2 shown]
	v_add_f64 v[104:105], v[172:173], -v[156:157]
	v_add_f64 v[166:167], v[220:221], -v[238:239]
	;; [unrolled: 1-line block ×3, first 2 shown]
	v_add_f64 v[156:157], v[160:161], v[234:235]
	v_add_f64 v[92:93], v[144:145], -v[174:175]
	v_add_f64 v[108:109], v[174:175], v[144:145]
	ds_read2_b64 v[142:145], v164 offset0:5 offset1:54
	v_add_f64 v[96:97], v[186:187], -v[188:189]
	v_add_f64 v[116:117], v[188:189], v[186:187]
	v_add_f64 v[174:175], v[254:255], -v[232:233]
	v_add_f64 v[188:189], v[196:197], -v[194:195]
	v_add_f64 v[186:187], v[152:153], v[128:129]
	v_add_f64 v[172:173], v[154:155], v[4:5]
	v_add_f64 v[164:165], v[154:155], -v[196:197]
	v_add_f64 v[154:155], v[194:195], -v[154:155]
	;; [unrolled: 1-line block ×3, first 2 shown]
	v_add_f64 v[184:185], v[184:185], v[250:251]
	v_add_f64 v[160:161], v[150:151], v[158:159]
	v_add_f64 v[194:195], v[150:151], -v[156:157]
	v_add_f64 v[150:151], v[158:159], -v[150:151]
	s_waitcnt lgkmcnt(0)
	v_mul_f64 v[168:169], v[140:141], v[144:145]
	v_mul_f64 v[144:145], v[138:139], v[144:145]
	;; [unrolled: 1-line block ×4, first 2 shown]
	v_add_f64 v[186:187], v[166:167], v[186:187]
	v_add_f64 v[4:5], v[170:171], v[172:173]
	v_add_f64 v[170:171], v[166:167], -v[152:153]
	v_add_f64 v[152:153], v[152:153], -v[128:129]
	;; [unrolled: 1-line block ×3, first 2 shown]
	v_add_f64 v[166:167], v[162:163], v[174:175]
	v_add_f64 v[160:161], v[156:157], v[160:161]
	v_mul_f64 v[164:165], v[164:165], s[24:25]
	v_add_f64 v[156:157], v[156:157], -v[158:159]
	v_fma_f64 v[138:139], v[180:181], v[138:139], -v[168:169]
	v_add_f64 v[168:169], v[222:223], -v[240:241]
	v_fma_f64 v[140:141], v[180:181], v[140:141], v[144:145]
	ds_read_b64 v[144:145], v2
	v_fma_f64 v[126:127], v[178:179], v[126:127], v[200:201]
	v_fma_f64 v[172:173], v[172:173], s[14:15], v[4:5]
	v_mul_f64 v[152:153], v[152:153], s[22:23]
	v_add_f64 v[2:3], v[0:1], v[160:161]
	v_fma_f64 v[0:1], v[178:179], v[124:125], -v[142:143]
	v_mul_f64 v[156:157], v[156:157], s[24:25]
	s_clause 0x3
	buffer_load_dword v178, off, s[28:31], 0 offset:60
	buffer_load_dword v179, off, s[28:31], 0 offset:64
	;; [unrolled: 1-line block ×4, first 2 shown]
	v_add_f64 v[124:125], v[132:133], v[148:149]
	v_add_f64 v[132:133], v[132:133], -v[148:149]
	v_add_f64 v[158:159], v[168:169], -v[162:163]
	;; [unrolled: 1-line block ×3, first 2 shown]
	v_add_f64 v[166:167], v[168:169], v[166:167]
	v_add_f64 v[168:169], v[174:175], -v[168:169]
	v_mul_f64 v[174:175], v[154:155], s[10:11]
	v_fma_f64 v[154:155], v[154:155], s[10:11], v[164:165]
	v_fma_f64 v[164:165], v[188:189], s[6:7], -v[164:165]
	v_add_f64 v[198:199], v[192:193], v[140:141]
	v_add_f64 v[140:141], v[192:193], -v[140:141]
	v_fma_f64 v[160:161], v[160:161], s[14:15], v[2:3]
	v_mul_f64 v[162:163], v[162:163], s[22:23]
	v_fma_f64 v[174:175], v[188:189], s[16:17], -v[174:175]
	v_mul_f64 v[188:189], v[128:129], s[4:5]
	v_fma_f64 v[128:129], v[128:129], s[4:5], -v[152:153]
	v_add_f64 v[154:155], v[154:155], v[172:173]
	v_add_f64 v[164:165], v[164:165], v[172:173]
	v_add_f64 v[174:175], v[174:175], v[172:173]
	v_fma_f64 v[188:189], v[170:171], s[20:21], -v[188:189]
	v_fma_f64 v[170:171], v[170:171], s[18:19], v[152:153]
	v_mul_f64 v[152:153], v[194:195], s[10:11]
	v_fma_f64 v[194:195], v[194:195], s[10:11], v[156:157]
	v_fma_f64 v[128:129], v[186:187], s[0:1], v[128:129]
	v_mul_f64 v[172:173], v[122:123], v[130:131]
	v_mul_f64 v[130:131], v[120:121], v[130:131]
	v_fma_f64 v[188:189], v[186:187], s[0:1], v[188:189]
	v_fma_f64 v[170:171], v[186:187], s[0:1], v[170:171]
	v_fma_f64 v[152:153], v[150:151], s[16:17], -v[152:153]
	v_fma_f64 v[150:151], v[150:151], s[6:7], -v[156:157]
	;; [unrolled: 1-line block ×3, first 2 shown]
	v_mul_f64 v[168:169], v[168:169], s[4:5]
	v_fma_f64 v[162:163], v[158:159], s[18:19], v[162:163]
	v_add_f64 v[186:187], v[146:147], -v[138:139]
	v_add_f64 v[138:139], v[146:147], v[138:139]
	v_add_f64 v[146:147], v[244:245], v[176:177]
	;; [unrolled: 1-line block ×3, first 2 shown]
	v_fma_f64 v[172:173], v[6:7], v[120:121], -v[172:173]
	v_fma_f64 v[6:7], v[6:7], v[122:123], v[130:131]
	v_add_f64 v[122:123], v[164:165], -v[128:129]
	v_add_f64 v[130:131], v[128:129], v[164:165]
	v_add_f64 v[176:177], v[244:245], -v[176:177]
	v_add_f64 v[152:153], v[152:153], v[160:161]
	v_add_f64 v[150:151], v[150:151], v[160:161]
	v_fma_f64 v[156:157], v[166:167], s[0:1], v[156:157]
	v_fma_f64 v[158:159], v[158:159], s[20:21], -v[168:169]
	v_add_f64 v[168:169], v[190:191], v[252:253]
	v_add_f64 v[202:203], v[186:187], -v[196:197]
	v_add_f64 v[210:211], v[138:139], -v[184:185]
	v_add_f64 v[208:209], v[146:147], v[184:185]
	v_add_f64 v[192:193], v[146:147], -v[138:139]
	v_add_f64 v[160:161], v[246:247], v[242:243]
	;; [unrolled: 2-line block ×3, first 2 shown]
	v_fma_f64 v[162:163], v[166:167], s[0:1], v[162:163]
	v_add_f64 v[196:197], v[196:197], -v[176:177]
	v_add_f64 v[186:187], v[176:177], -v[186:187]
	;; [unrolled: 1-line block ×3, first 2 shown]
	v_add_f64 v[184:185], v[6:7], v[126:127]
	v_add_f64 v[6:7], v[6:7], -v[126:127]
	v_add_f64 v[120:121], v[156:157], v[150:151]
	v_add_f64 v[128:129], v[150:151], -v[156:157]
	v_add_f64 v[204:205], v[198:199], -v[168:169]
	v_mul_f64 v[200:201], v[202:203], s[22:23]
	v_mul_f64 v[210:211], v[210:211], s[24:25]
	v_fma_f64 v[158:159], v[166:167], s[0:1], v[158:159]
	v_add_f64 v[166:167], v[218:219], v[182:183]
	v_add_f64 v[150:151], v[160:161], v[168:169]
	v_add_f64 v[156:157], v[160:161], -v[198:199]
	v_add_f64 v[212:213], v[140:141], -v[190:191]
	;; [unrolled: 1-line block ×4, first 2 shown]
	v_add_f64 v[214:215], v[140:141], v[190:191]
	v_add_f64 v[140:141], v[206:207], -v[140:141]
	v_add_f64 v[164:165], v[176:177], v[164:165]
	v_mul_f64 v[190:191], v[196:197], s[4:5]
	v_add_f64 v[182:183], v[218:219], -v[182:183]
	v_add_f64 v[219:220], v[172:173], -v[0:1]
	v_add_f64 v[0:1], v[172:173], v[0:1]
	v_mul_f64 v[202:203], v[204:205], s[24:25]
	v_add_f64 v[204:205], v[138:139], v[208:209]
	buffer_load_dword v138, off, s[28:31], 0 offset:12 ; 4-byte Folded Reload
	v_mul_f64 v[208:209], v[192:193], s[10:11]
	v_fma_f64 v[148:149], v[192:193], s[10:11], v[210:211]
	v_add_f64 v[150:151], v[198:199], v[150:151]
	v_mul_f64 v[198:199], v[156:157], s[10:11]
	v_fma_f64 v[216:217], v[186:187], s[18:19], v[200:201]
	v_fma_f64 v[196:197], v[196:197], s[4:5], -v[200:201]
	v_mul_f64 v[192:193], v[168:169], s[4:5]
	v_fma_f64 v[186:187], v[186:187], s[20:21], -v[190:191]
	v_add_f64 v[136:137], v[136:137], v[204:205]
	v_fma_f64 v[190:191], v[160:161], s[16:17], -v[198:199]
	v_fma_f64 v[198:199], v[146:147], s[16:17], -v[208:209]
	;; [unrolled: 1-line block ×5, first 2 shown]
	v_fma_f64 v[186:187], v[164:165], s[0:1], v[186:187]
	v_fma_f64 v[204:205], v[204:205], s[14:15], v[136:137]
	v_add_f64 v[198:199], v[198:199], v[204:205]
	s_waitcnt vmcnt(3)
	v_add_f64 v[142:143], v[178:179], v[134:135]
	v_add_f64 v[134:135], v[178:179], -v[134:135]
	v_add_f64 v[178:179], v[206:207], v[214:215]
	s_waitcnt vmcnt(1)
	v_add_f64 v[176:177], v[180:181], v[248:249]
	v_add_f64 v[180:181], v[180:181], -v[248:249]
	v_add_f64 v[206:207], v[124:125], -v[184:185]
	v_add_f64 v[172:173], v[124:125], v[142:143]
	v_add_f64 v[208:209], v[184:185], -v[142:143]
	v_add_f64 v[210:211], v[6:7], -v[134:135]
	;; [unrolled: 3-line block ×3, first 2 shown]
	v_fma_f64 v[192:193], v[178:179], s[0:1], v[192:193]
	v_add_f64 v[172:173], v[184:185], v[172:173]
	v_mul_f64 v[208:209], v[208:209], s[24:25]
	v_mul_f64 v[210:211], v[210:211], s[22:23]
	v_add_f64 v[184:185], v[0:1], v[126:127]
	v_add_f64 v[126:127], v[0:1], -v[176:177]
	v_add_f64 v[0:1], v[166:167], -v[0:1]
	v_mul_f64 v[200:201], v[200:201], s[22:23]
	v_add_f64 v[166:167], v[176:177], -v[166:167]
	v_mul_f64 v[176:177], v[0:1], s[10:11]
	v_fma_f64 v[176:177], v[166:167], s[16:17], -v[176:177]
	s_waitcnt vmcnt(0)
	ds_read_b64 v[221:222], v138
	s_waitcnt lgkmcnt(1)
	v_add_f64 v[138:139], v[144:145], v[150:151]
	v_fma_f64 v[144:145], v[156:157], s[10:11], v[202:203]
	v_mul_f64 v[156:157], v[212:213], s[22:23]
	v_add_f64 v[212:213], v[134:135], -v[132:133]
	v_add_f64 v[202:203], v[219:220], v[180:181]
	v_add_f64 v[180:181], v[180:181], -v[182:183]
	v_add_f64 v[134:135], v[6:7], v[134:135]
	v_add_f64 v[6:7], v[132:133], -v[6:7]
	s_waitcnt lgkmcnt(0)
	v_add_f64 v[142:143], v[221:222], v[172:173]
	v_fma_f64 v[150:151], v[150:151], s[14:15], v[138:139]
	v_fma_f64 v[214:215], v[140:141], s[18:19], v[156:157]
	s_clause 0x1
	buffer_load_dword v140, off, s[28:31], 0 offset:44
	buffer_load_dword v141, off, s[28:31], 0 offset:48
	v_fma_f64 v[156:157], v[168:169], s[4:5], -v[156:157]
	v_add_f64 v[168:169], v[182:183], -v[219:220]
	v_mul_f64 v[220:221], v[126:127], s[24:25]
	v_mul_f64 v[222:223], v[212:213], s[4:5]
	;; [unrolled: 1-line block ×3, first 2 shown]
	v_add_f64 v[182:183], v[182:183], v[202:203]
	v_mul_f64 v[202:203], v[180:181], s[4:5]
	v_add_f64 v[224:225], v[132:133], v[134:135]
	v_fma_f64 v[180:181], v[180:181], s[4:5], -v[200:201]
	v_fma_f64 v[206:207], v[206:207], s[10:11], v[208:209]
	v_fma_f64 v[208:209], v[124:125], s[6:7], -v[208:209]
	v_add_f64 v[134:135], v[188:189], v[174:175]
	v_add_f64 v[126:127], v[170:171], v[154:155]
	v_add_f64 v[132:133], v[152:153], -v[158:159]
	v_fma_f64 v[172:173], v[172:173], s[14:15], v[142:143]
	v_add_f64 v[190:191], v[190:191], v[150:151]
	v_fma_f64 v[214:215], v[178:179], s[0:1], v[214:215]
	v_fma_f64 v[178:179], v[178:179], s[0:1], v[156:157]
	v_add_f64 v[156:157], v[198:199], -v[192:193]
	v_fma_f64 v[0:1], v[0:1], s[10:11], v[220:221]
	v_fma_f64 v[222:223], v[6:7], s[20:21], -v[222:223]
	v_fma_f64 v[6:7], v[6:7], s[18:19], v[210:211]
	v_fma_f64 v[218:219], v[124:125], s[16:17], -v[218:219]
	v_fma_f64 v[202:203], v[168:169], s[20:21], -v[202:203]
	v_fma_f64 v[168:169], v[168:169], s[18:19], v[200:201]
	v_fma_f64 v[166:167], v[166:167], s[6:7], -v[220:221]
	v_fma_f64 v[200:201], v[164:165], s[0:1], v[216:217]
	v_add_f64 v[220:221], v[148:149], v[204:205]
	v_fma_f64 v[148:149], v[212:213], s[4:5], -v[210:211]
	v_add_f64 v[210:211], v[160:161], v[150:151]
	v_fma_f64 v[164:165], v[164:165], s[0:1], v[196:197]
	v_add_f64 v[196:197], v[146:147], v[204:205]
	v_add_f64 v[124:125], v[194:195], -v[162:163]
	v_add_f64 v[216:217], v[144:145], v[150:151]
	v_add_f64 v[146:147], v[174:175], -v[188:189]
	v_add_f64 v[188:189], v[208:209], v[172:173]
	v_fma_f64 v[208:209], v[182:183], s[0:1], v[180:181]
	v_add_f64 v[150:151], v[154:155], -v[170:171]
	v_add_f64 v[206:207], v[206:207], v[172:173]
	v_add_f64 v[144:145], v[158:159], v[152:153]
	;; [unrolled: 1-line block ×3, first 2 shown]
	v_add_f64 v[170:171], v[190:191], -v[186:187]
	v_fma_f64 v[222:223], v[224:225], s[0:1], v[222:223]
	v_fma_f64 v[6:7], v[224:225], s[0:1], v[6:7]
	v_add_f64 v[212:213], v[218:219], v[172:173]
	v_fma_f64 v[202:203], v[182:183], s[0:1], v[202:203]
	v_fma_f64 v[204:205], v[182:183], s[0:1], v[168:169]
	v_add_f64 v[168:169], v[192:193], v[198:199]
	v_add_f64 v[152:153], v[220:221], -v[214:215]
	v_fma_f64 v[224:225], v[224:225], s[0:1], v[148:149]
	v_add_f64 v[148:149], v[162:163], v[194:195]
	v_add_f64 v[162:163], v[210:211], -v[164:165]
	v_add_f64 v[160:161], v[178:179], v[196:197]
	v_add_f64 v[172:173], v[214:215], v[220:221]
	;; [unrolled: 1-line block ×3, first 2 shown]
	v_add_f64 v[174:175], v[216:217], -v[200:201]
	v_mad_u64_u32 v[200:201], null, s2, v231, 0
	v_add_nc_u32_e32 v214, 0x157, v231
	v_add_f64 v[186:187], v[188:189], -v[208:209]
	v_add_f64 v[190:191], v[208:209], v[188:189]
	v_mad_u64_u32 v[208:209], null, s2, v214, 0
	v_mov_b32_e32 v192, v201
	v_add_f64 v[182:183], v[202:203], v[212:213]
	v_add_f64 v[194:195], v[212:213], -v[202:203]
	v_add_f64 v[198:199], v[206:207], -v[204:205]
	s_waitcnt vmcnt(0)
	v_add_f64 v[140:141], v[140:141], v[184:185]
	v_fma_f64 v[184:185], v[184:185], s[14:15], v[140:141]
	v_add_f64 v[0:1], v[0:1], v[184:185]
	v_add_f64 v[218:219], v[176:177], v[184:185]
	;; [unrolled: 1-line block ×4, first 2 shown]
	v_add_f64 v[164:165], v[196:197], -v[178:179]
	v_mad_u64_u32 v[210:211], null, s3, v231, v[192:193]
	v_add_nc_u32_e32 v211, 0x2ae, v231
	v_add_f64 v[178:179], v[204:205], v[206:207]
	v_mad_u64_u32 v[202:203], null, s2, v211, 0
	v_mov_b32_e32 v201, v210
	v_lshlrev_b64 v[200:201], 4, v[200:201]
	v_add_f64 v[176:177], v[0:1], -v[6:7]
	v_add_f64 v[196:197], v[6:7], v[0:1]
	s_clause 0x1
	buffer_load_dword v0, off, s[28:31], 0 offset:32
	buffer_load_dword v1, off, s[28:31], 0 offset:36
	v_mad_u64_u32 v[6:7], null, s3, v214, v[209:210]
	v_add_nc_u32_e32 v210, 0x405, v231
	v_mov_b32_e32 v7, v203
	v_add_f64 v[192:193], v[222:223], v[218:219]
	v_add_f64 v[188:189], v[226:227], -v[224:225]
	v_add_f64 v[184:185], v[224:225], v[226:227]
	v_mad_u64_u32 v[204:205], null, s2, v210, 0
	v_mov_b32_e32 v209, v6
	v_mad_u64_u32 v[206:207], null, s3, v211, v[7:8]
	v_add_nc_u32_e32 v211, 0x55c, v231
	v_add_f64 v[180:181], v[218:219], -v[222:223]
	v_lshlrev_b64 v[207:208], 4, v[208:209]
	v_mov_b32_e32 v6, v205
	v_mov_b32_e32 v203, v206
	v_mad_u64_u32 v[6:7], null, s3, v210, v[6:7]
	v_mad_u64_u32 v[209:210], null, s2, v211, 0
	s_waitcnt vmcnt(1)
	v_add_co_u32 v0, vcc_lo, s12, v0
	s_waitcnt vmcnt(0)
	v_add_co_ci_u32_e32 v1, vcc_lo, s13, v1, vcc_lo
	v_add_co_u32 v200, vcc_lo, v0, v200
	v_add_co_ci_u32_e32 v201, vcc_lo, v1, v201, vcc_lo
	v_add_co_u32 v205, vcc_lo, v0, v207
	v_add_co_ci_u32_e32 v206, vcc_lo, v1, v208, vcc_lo
	global_store_dwordx4 v[200:201], v[140:143], off
	v_add_nc_u32_e32 v200, 0x6b3, v231
	v_lshlrev_b64 v[140:141], 4, v[202:203]
	global_store_dwordx4 v[205:206], v[196:199], off
	v_mov_b32_e32 v205, v6
	v_mov_b32_e32 v6, v210
	v_mad_u64_u32 v[142:143], null, s2, v200, 0
	v_add_co_u32 v140, vcc_lo, v0, v140
	v_lshlrev_b64 v[196:197], 4, v[204:205]
	v_add_co_ci_u32_e32 v141, vcc_lo, v1, v141, vcc_lo
	v_mov_b32_e32 v7, v143
	v_add_co_u32 v196, vcc_lo, v0, v196
	v_add_co_ci_u32_e32 v197, vcc_lo, v1, v197, vcc_lo
	v_mad_u64_u32 v[198:199], null, s3, v211, v[6:7]
	v_mad_u64_u32 v[6:7], null, s3, v200, v[7:8]
	v_add_nc_u32_e32 v7, 0x80a, v231
	global_store_dwordx4 v[140:141], v[192:195], off
	v_add_nc_u32_e32 v193, 49, v231
	v_add_nc_u32_e32 v195, 0x188, v231
	global_store_dwordx4 v[196:197], v[188:191], off
	v_mad_u64_u32 v[199:200], null, s2, v7, 0
	v_mov_b32_e32 v143, v6
	v_mad_u64_u32 v[188:189], null, s2, v193, 0
	v_mad_u64_u32 v[190:191], null, s2, v195, 0
	v_mov_b32_e32 v210, v198
	v_mov_b32_e32 v6, v200
	v_add_nc_u32_e32 v196, 0x2df, v231
	v_lshlrev_b64 v[142:143], 4, v[142:143]
	v_lshlrev_b64 v[140:141], 4, v[209:210]
	v_mad_u64_u32 v[6:7], null, s3, v7, v[6:7]
	v_mov_b32_e32 v7, v191
	v_add_co_u32 v140, vcc_lo, v0, v140
	v_add_co_ci_u32_e32 v141, vcc_lo, v1, v141, vcc_lo
	v_mov_b32_e32 v200, v6
	v_mov_b32_e32 v6, v189
	v_add_co_u32 v142, vcc_lo, v0, v142
	v_add_co_ci_u32_e32 v143, vcc_lo, v1, v143, vcc_lo
	v_mad_u64_u32 v[193:194], null, s3, v193, v[6:7]
	v_lshlrev_b64 v[191:192], 4, v[199:200]
	v_mad_u64_u32 v[6:7], null, s3, v195, v[7:8]
	v_mad_u64_u32 v[194:195], null, s2, v196, 0
	global_store_dwordx4 v[140:141], v[184:187], off
	global_store_dwordx4 v[142:143], v[180:183], off
	v_add_co_u32 v191, vcc_lo, v0, v191
	v_add_co_ci_u32_e32 v192, vcc_lo, v1, v192, vcc_lo
	v_add_nc_u32_e32 v182, 0x436, v231
	v_mov_b32_e32 v7, v195
	v_mov_b32_e32 v189, v193
	global_store_dwordx4 v[191:192], v[176:179], off
	v_mov_b32_e32 v191, v6
	v_add_nc_u32_e32 v184, 0x58d, v231
	v_mad_u64_u32 v[6:7], null, s3, v196, v[7:8]
	v_add_nc_u32_e32 v185, 0x6e4, v231
	v_mad_u64_u32 v[142:143], null, s2, v182, 0
	v_lshlrev_b64 v[140:141], 4, v[188:189]
	v_lshlrev_b64 v[176:177], 4, v[190:191]
	v_mad_u64_u32 v[178:179], null, s2, v185, 0
	v_mov_b32_e32 v195, v6
	v_mad_u64_u32 v[6:7], null, s2, v184, 0
	v_add_co_u32 v140, vcc_lo, v0, v140
	v_lshlrev_b64 v[180:181], 4, v[194:195]
	v_mad_u64_u32 v[182:183], null, s3, v182, v[143:144]
	v_add_co_ci_u32_e32 v141, vcc_lo, v1, v141, vcc_lo
	v_add_co_u32 v176, vcc_lo, v0, v176
	v_mad_u64_u32 v[183:184], null, s3, v184, v[7:8]
	v_mov_b32_e32 v7, v179
	v_add_co_ci_u32_e32 v177, vcc_lo, v1, v177, vcc_lo
	v_add_co_u32 v179, vcc_lo, v0, v180
	v_add_co_ci_u32_e32 v180, vcc_lo, v1, v181, vcc_lo
	v_mov_b32_e32 v143, v182
	v_mad_u64_u32 v[181:182], null, s3, v185, v[7:8]
	v_add_nc_u32_e32 v182, 0x83b, v231
	global_store_dwordx4 v[140:141], v[136:139], off
	global_store_dwordx4 v[176:177], v[172:175], off
	;; [unrolled: 1-line block ×3, first 2 shown]
	v_mov_b32_e32 v7, v183
	v_lshlrev_b64 v[136:137], 4, v[142:143]
	v_mad_u64_u32 v[184:185], null, s2, v182, 0
	v_mov_b32_e32 v179, v181
	v_lshlrev_b64 v[6:7], 4, v[6:7]
	v_add_nc_u32_e32 v168, 0x62, v231
	v_add_co_u32 v136, vcc_lo, v0, v136
	v_lshlrev_b64 v[139:140], 4, v[178:179]
	v_mov_b32_e32 v138, v185
	v_add_co_ci_u32_e32 v137, vcc_lo, v1, v137, vcc_lo
	v_add_co_u32 v6, vcc_lo, v0, v6
	v_mad_u64_u32 v[141:142], null, s3, v182, v[138:139]
	v_mad_u64_u32 v[142:143], null, s2, v168, 0
	v_add_nc_u32_e32 v169, 0x1b9, v231
	v_add_co_ci_u32_e32 v7, vcc_lo, v1, v7, vcc_lo
	v_add_co_u32 v138, vcc_lo, v0, v139
	v_mov_b32_e32 v185, v141
	v_add_co_ci_u32_e32 v139, vcc_lo, v1, v140, vcc_lo
	v_mad_u64_u32 v[140:141], null, s2, v169, 0
	global_store_dwordx4 v[136:137], v[164:167], off
	v_mov_b32_e32 v136, v143
	global_store_dwordx4 v[6:7], v[160:163], off
	global_store_dwordx4 v[138:139], v[156:159], off
	v_lshlrev_b64 v[6:7], 4, v[184:185]
	v_add_nc_u32_e32 v158, 0x467, v231
	v_mad_u64_u32 v[136:137], null, s3, v168, v[136:137]
	v_mov_b32_e32 v137, v141
	v_add_nc_u32_e32 v141, 0x310, v231
	v_mad_u64_u32 v[156:157], null, s2, v158, 0
	v_add_co_u32 v6, vcc_lo, v0, v6
	v_add_co_ci_u32_e32 v7, vcc_lo, v1, v7, vcc_lo
	v_mad_u64_u32 v[138:139], null, s2, v141, 0
	v_mov_b32_e32 v143, v136
	global_store_dwordx4 v[6:7], v[152:155], off
	v_mov_b32_e32 v6, v157
	v_add_nc_u32_e32 v154, 0x5be, v231
	v_lshlrev_b64 v[142:143], 4, v[142:143]
	v_mad_u64_u32 v[136:137], null, s3, v169, v[137:138]
	v_mad_u64_u32 v[6:7], null, s3, v158, v[6:7]
	v_mov_b32_e32 v137, v139
	v_add_nc_u32_e32 v158, 0x86c, v231
	v_mad_u64_u32 v[152:153], null, s3, v141, v[137:138]
	v_mov_b32_e32 v157, v6
	v_mov_b32_e32 v141, v136
	v_add_co_u32 v136, vcc_lo, v0, v142
	v_add_co_ci_u32_e32 v137, vcc_lo, v1, v143, vcc_lo
	v_lshlrev_b64 v[142:143], 4, v[156:157]
	v_add_nc_u32_e32 v156, 0x715, v231
	v_mov_b32_e32 v139, v152
	v_lshlrev_b64 v[140:141], 4, v[140:141]
	v_mad_u64_u32 v[6:7], null, s2, v154, 0
	v_mad_u64_u32 v[152:153], null, s2, v156, 0
	v_lshlrev_b64 v[138:139], 4, v[138:139]
	v_add_co_u32 v140, vcc_lo, v0, v140
	v_add_co_ci_u32_e32 v141, vcc_lo, v1, v141, vcc_lo
	v_mad_u64_u32 v[154:155], null, s3, v154, v[7:8]
	v_add_co_u32 v138, vcc_lo, v0, v138
	v_mov_b32_e32 v7, v153
	v_add_co_ci_u32_e32 v139, vcc_lo, v1, v139, vcc_lo
	v_add_co_u32 v142, vcc_lo, v0, v142
	v_add_co_ci_u32_e32 v143, vcc_lo, v1, v143, vcc_lo
	v_mad_u64_u32 v[155:156], null, s3, v156, v[7:8]
	v_mad_u64_u32 v[156:157], null, s2, v158, 0
	v_mov_b32_e32 v7, v154
	global_store_dwordx4 v[136:137], v[2:5], off
	global_store_dwordx4 v[140:141], v[148:151], off
	;; [unrolled: 1-line block ×4, first 2 shown]
	v_add_nc_u32_e32 v138, 0x93, v231
	v_mov_b32_e32 v153, v155
	v_lshlrev_b64 v[2:3], 4, v[6:7]
	v_mov_b32_e32 v4, v157
	v_mad_u64_u32 v[5:6], null, s2, v138, 0
	v_lshlrev_b64 v[128:129], 4, v[152:153]
	v_add_co_u32 v2, vcc_lo, v0, v2
	v_add_co_ci_u32_e32 v3, vcc_lo, v1, v3, vcc_lo
	v_mad_u64_u32 v[130:131], null, s3, v158, v[4:5]
	v_add_nc_u32_e32 v131, 0x1ea, v231
	v_mov_b32_e32 v4, v6
	v_add_co_u32 v6, vcc_lo, v0, v128
	v_add_co_ci_u32_e32 v7, vcc_lo, v1, v129, vcc_lo
	v_mad_u64_u32 v[136:137], null, s2, v131, 0
	v_mad_u64_u32 v[128:129], null, s3, v138, v[4:5]
	v_mov_b32_e32 v157, v130
	v_add_nc_u32_e32 v130, 0x341, v231
	global_store_dwordx4 v[2:3], v[120:123], off
	global_store_dwordx4 v[6:7], v[132:135], off
	v_add_nc_u32_e32 v134, 0x498, v231
	v_mov_b32_e32 v4, v137
	v_lshlrev_b64 v[2:3], 4, v[156:157]
	v_mov_b32_e32 v6, v128
	v_mad_u64_u32 v[128:129], null, s2, v134, 0
	v_mad_u64_u32 v[120:121], null, s3, v131, v[4:5]
	;; [unrolled: 1-line block ×3, first 2 shown]
	v_lshlrev_b64 v[4:5], 4, v[5:6]
	v_add_co_u32 v2, vcc_lo, v0, v2
	v_add_co_ci_u32_e32 v3, vcc_lo, v1, v3, vcc_lo
	v_mov_b32_e32 v137, v120
	v_mov_b32_e32 v6, v122
	v_add_nc_u32_e32 v120, 0x5ef, v231
	v_add_co_u32 v4, vcc_lo, v0, v4
	v_lshlrev_b64 v[122:123], 4, v[136:137]
	v_mad_u64_u32 v[6:7], null, s3, v130, v[6:7]
	v_mad_u64_u32 v[130:131], null, s2, v120, 0
	v_add_co_ci_u32_e32 v5, vcc_lo, v1, v5, vcc_lo
	v_add_co_u32 v132, vcc_lo, v0, v122
	v_mov_b32_e32 v122, v6
	v_add_co_ci_u32_e32 v133, vcc_lo, v1, v123, vcc_lo
	global_store_dwordx4 v[2:3], v[124:127], off
	global_store_dwordx4 v[4:5], v[112:115], off
	;; [unrolled: 1-line block ×3, first 2 shown]
	v_lshlrev_b64 v[3:4], 4, v[121:122]
	v_mov_b32_e32 v7, v129
	v_mov_b32_e32 v2, v131
	v_add_nc_u32_e32 v118, 0x746, v231
	v_add_nc_u32_e32 v119, 0xc4, v231
	v_mad_u64_u32 v[134:135], null, s3, v134, v[7:8]
	v_mad_u64_u32 v[5:6], null, s3, v120, v[2:3]
	;; [unrolled: 1-line block ×3, first 2 shown]
	v_mul_hi_u32 v116, 0xbf112a8b, v119
	v_add_co_u32 v2, vcc_lo, v0, v3
	v_mov_b32_e32 v129, v134
	v_add_co_ci_u32_e32 v3, vcc_lo, v1, v4, vcc_lo
	v_add_nc_u32_e32 v120, 0x89d, v231
	v_mov_b32_e32 v131, v5
	v_mov_b32_e32 v4, v7
	v_lshrrev_b32_e32 v5, 8, v116
	v_lshlrev_b64 v[112:113], 4, v[128:129]
	v_mad_u64_u32 v[114:115], null, s2, v120, 0
	v_lshlrev_b64 v[116:117], 4, v[130:131]
	v_mad_u32_u24 v122, 0x80a, v5, v119
	v_mad_u64_u32 v[4:5], null, s3, v118, v[4:5]
	v_add_co_u32 v112, vcc_lo, v0, v112
	v_mad_u64_u32 v[118:119], null, s2, v122, 0
	v_add_co_ci_u32_e32 v113, vcc_lo, v1, v113, vcc_lo
	v_mov_b32_e32 v5, v115
	v_add_co_u32 v115, vcc_lo, v0, v116
	v_mov_b32_e32 v7, v4
	v_add_co_ci_u32_e32 v116, vcc_lo, v1, v117, vcc_lo
	global_store_dwordx4 v[2:3], v[108:111], off
	global_store_dwordx4 v[112:113], v[104:107], off
	;; [unrolled: 1-line block ×3, first 2 shown]
	v_lshlrev_b64 v[3:4], 4, v[6:7]
	v_mov_b32_e32 v2, v119
	v_mad_u64_u32 v[120:121], null, s3, v120, v[5:6]
	v_add_nc_u32_e32 v106, 0x157, v122
	v_add_nc_u32_e32 v107, 0x2ae, v122
	v_mad_u64_u32 v[5:6], null, s3, v122, v[2:3]
	v_add_co_u32 v2, vcc_lo, v0, v3
	v_mad_u64_u32 v[6:7], null, s2, v106, 0
	v_mov_b32_e32 v115, v120
	v_mad_u64_u32 v[102:103], null, s2, v107, 0
	v_mov_b32_e32 v119, v5
	v_add_co_ci_u32_e32 v3, vcc_lo, v1, v4, vcc_lo
	v_lshlrev_b64 v[100:101], 4, v[114:115]
	v_mov_b32_e32 v4, v7
	v_lshlrev_b64 v[104:105], 4, v[118:119]
	v_add_nc_u32_e32 v108, 0x405, v122
	v_mad_u64_u32 v[4:5], null, s3, v106, v[4:5]
	v_add_co_u32 v100, vcc_lo, v0, v100
	v_mov_b32_e32 v5, v103
	v_add_co_ci_u32_e32 v101, vcc_lo, v1, v101, vcc_lo
	v_add_co_u32 v103, vcc_lo, v0, v104
	v_add_co_ci_u32_e32 v104, vcc_lo, v1, v105, vcc_lo
	v_mad_u64_u32 v[105:106], null, s3, v107, v[5:6]
	v_mov_b32_e32 v7, v4
	v_mad_u64_u32 v[106:107], null, s2, v108, 0
	global_store_dwordx4 v[2:3], v[92:95], off
	global_store_dwordx4 v[100:101], v[96:99], off
	global_store_dwordx4 v[103:104], v[80:83], off
	v_add_nc_u32_e32 v94, 0x55c, v122
	v_lshlrev_b64 v[2:3], 4, v[6:7]
	v_mov_b32_e32 v103, v105
	v_add_nc_u32_e32 v95, 0x6b3, v122
	v_mad_u64_u32 v[5:6], null, s2, v94, 0
	v_lshlrev_b64 v[80:81], 4, v[102:103]
	v_mov_b32_e32 v4, v107
	v_add_co_u32 v2, vcc_lo, v0, v2
	v_add_co_ci_u32_e32 v3, vcc_lo, v1, v3, vcc_lo
	v_mad_u64_u32 v[82:83], null, s3, v108, v[4:5]
	v_mov_b32_e32 v4, v6
	v_add_co_u32 v6, vcc_lo, v0, v80
	v_add_co_ci_u32_e32 v7, vcc_lo, v1, v81, vcc_lo
	global_store_dwordx4 v[2:3], v[88:91], off
	global_store_dwordx4 v[6:7], v[84:87], off
	buffer_load_dword v83, off, s[28:31], 0 offset:120 ; 4-byte Folded Reload
	v_mad_u64_u32 v[92:93], null, s2, v95, 0
	v_mov_b32_e32 v107, v82
	v_mad_u64_u32 v[80:81], null, s3, v94, v[4:5]
	v_add_nc_u32_e32 v87, 0x80a, v122
	v_lshlrev_b64 v[3:4], 4, v[106:107]
	v_mov_b32_e32 v2, v93
	v_mov_b32_e32 v6, v80
	v_mad_u64_u32 v[80:81], null, s3, v95, v[2:3]
	v_mad_u64_u32 v[81:82], null, s2, v87, 0
	v_add_co_u32 v2, vcc_lo, v0, v3
	v_add_co_ci_u32_e32 v3, vcc_lo, v1, v4, vcc_lo
	v_lshlrev_b64 v[4:5], 4, v[5:6]
	v_mov_b32_e32 v93, v80
	v_mov_b32_e32 v6, v82
	v_lshlrev_b64 v[85:86], 4, v[92:93]
	v_add_co_u32 v4, vcc_lo, v0, v4
	v_add_co_ci_u32_e32 v5, vcc_lo, v1, v5, vcc_lo
	s_waitcnt vmcnt(0)
	v_mul_hi_u32 v7, 0xbf112a8b, v83
	v_lshrrev_b32_e32 v7, 8, v7
	v_mad_u32_u24 v91, 0x80a, v7, v83
	v_mad_u64_u32 v[6:7], null, s3, v87, v[6:7]
	v_mad_u64_u32 v[83:84], null, s2, v91, 0
	v_add_nc_u32_e32 v80, 0x157, v91
	v_mov_b32_e32 v82, v6
	v_mad_u64_u32 v[87:88], null, s2, v80, 0
	v_mov_b32_e32 v7, v84
	v_add_co_u32 v84, vcc_lo, v0, v85
	v_add_co_ci_u32_e32 v85, vcc_lo, v1, v86, vcc_lo
	global_store_dwordx4 v[2:3], v[76:79], off
	global_store_dwordx4 v[4:5], v[72:75], off
	global_store_dwordx4 v[84:85], v[68:71], off
	v_lshlrev_b64 v[3:4], 4, v[81:82]
	v_mov_b32_e32 v2, v88
	v_mad_u64_u32 v[89:90], null, s3, v91, v[7:8]
	v_add_nc_u32_e32 v72, 0x2ae, v91
	v_add_nc_u32_e32 v74, 0x405, v91
	v_mad_u64_u32 v[5:6], null, s3, v80, v[2:3]
	v_add_co_u32 v2, vcc_lo, v0, v3
	v_mov_b32_e32 v84, v89
	v_add_co_ci_u32_e32 v3, vcc_lo, v1, v4, vcc_lo
	v_mad_u64_u32 v[6:7], null, s2, v72, 0
	v_mov_b32_e32 v88, v5
	v_lshlrev_b64 v[4:5], 4, v[83:84]
	global_store_dwordx4 v[2:3], v[64:67], off
	v_mad_u64_u32 v[68:69], null, s2, v74, 0
	v_lshlrev_b64 v[70:71], 4, v[87:88]
	v_mad_u64_u32 v[72:73], null, s3, v72, v[7:8]
	v_add_co_u32 v4, vcc_lo, v0, v4
	v_add_co_ci_u32_e32 v5, vcc_lo, v1, v5, vcc_lo
	v_add_co_u32 v70, vcc_lo, v0, v70
	v_add_co_ci_u32_e32 v71, vcc_lo, v1, v71, vcc_lo
	global_store_dwordx4 v[4:5], v[48:51], off
	v_mov_b32_e32 v7, v72
	v_mad_u64_u32 v[72:73], null, s3, v74, v[69:70]
	global_store_dwordx4 v[70:71], v[60:63], off
	buffer_load_dword v63, off, s[28:31], 0 offset:116 ; 4-byte Folded Reload
	v_add_nc_u32_e32 v64, 0x55c, v91
	v_add_nc_u32_e32 v62, 0x6b3, v91
	v_lshlrev_b64 v[2:3], 4, v[6:7]
	v_mov_b32_e32 v69, v72
	v_mad_u64_u32 v[4:5], null, s2, v64, 0
	v_mad_u64_u32 v[48:49], null, s2, v62, 0
	v_lshlrev_b64 v[6:7], 4, v[68:69]
	v_add_co_u32 v2, vcc_lo, v0, v2
	v_add_co_ci_u32_e32 v3, vcc_lo, v1, v3, vcc_lo
	v_mad_u64_u32 v[50:51], null, s3, v64, v[5:6]
	v_add_nc_u32_e32 v64, 0x80a, v91
	v_add_co_u32 v6, vcc_lo, v0, v6
	v_mov_b32_e32 v5, v49
	global_store_dwordx4 v[2:3], v[56:59], off
	v_add_co_ci_u32_e32 v7, vcc_lo, v1, v7, vcc_lo
	global_store_dwordx4 v[6:7], v[52:55], off
	s_waitcnt vmcnt(0)
	v_mul_hi_u32 v60, 0xbf112a8b, v63
	v_lshrrev_b32_e32 v51, 8, v60
	v_mad_u64_u32 v[60:61], null, s2, v64, 0
	v_mad_u32_u24 v65, 0x80a, v51, v63
	v_mad_u64_u32 v[62:63], null, s3, v62, v[5:6]
	v_mov_b32_e32 v5, v50
	v_mov_b32_e32 v2, v61
	v_mad_u64_u32 v[50:51], null, s2, v65, 0
	v_add_nc_u32_e32 v54, 0x157, v65
	v_lshlrev_b64 v[3:4], 4, v[4:5]
	v_mov_b32_e32 v49, v62
	v_mad_u64_u32 v[52:53], null, s2, v54, 0
	v_mad_u64_u32 v[5:6], null, s3, v64, v[2:3]
	v_mov_b32_e32 v2, v51
	v_add_co_u32 v3, vcc_lo, v0, v3
	v_lshlrev_b64 v[6:7], 4, v[48:49]
	v_add_co_ci_u32_e32 v4, vcc_lo, v1, v4, vcc_lo
	v_mad_u64_u32 v[48:49], null, s3, v65, v[2:3]
	v_mov_b32_e32 v61, v5
	v_add_co_u32 v5, vcc_lo, v0, v6
	v_add_co_ci_u32_e32 v6, vcc_lo, v1, v7, vcc_lo
	global_store_dwordx4 v[3:4], v[40:43], off
	v_mov_b32_e32 v51, v48
	v_lshlrev_b64 v[3:4], 4, v[60:61]
	v_mov_b32_e32 v2, v53
	global_store_dwordx4 v[5:6], v[44:47], off
	v_add_nc_u32_e32 v42, 0x80a, v65
	v_lshlrev_b64 v[5:6], 4, v[50:51]
	v_mad_u64_u32 v[40:41], null, s3, v54, v[2:3]
	v_add_co_u32 v2, vcc_lo, v0, v3
	v_add_co_ci_u32_e32 v3, vcc_lo, v1, v4, vcc_lo
	v_add_nc_u32_e32 v41, 0x2ae, v65
	v_add_co_u32 v4, vcc_lo, v0, v5
	v_add_co_ci_u32_e32 v5, vcc_lo, v1, v6, vcc_lo
	global_store_dwordx4 v[2:3], v[36:39], off
	v_add_nc_u32_e32 v36, 0x405, v65
	v_mad_u64_u32 v[6:7], null, s2, v41, 0
	v_mov_b32_e32 v53, v40
	v_add_nc_u32_e32 v39, 0x55c, v65
	global_store_dwordx4 v[4:5], v[16:19], off
	v_mad_u64_u32 v[4:5], null, s2, v36, 0
	v_lshlrev_b64 v[2:3], 4, v[52:53]
	v_mad_u64_u32 v[16:17], null, s2, v39, 0
	v_mad_u64_u32 v[18:19], null, s3, v41, v[7:8]
	v_add_nc_u32_e32 v41, 0x6b3, v65
	v_mad_u64_u32 v[36:37], null, s3, v36, v[5:6]
	v_add_co_u32 v2, vcc_lo, v0, v2
	v_mad_u64_u32 v[37:38], null, s2, v41, 0
	v_add_co_ci_u32_e32 v3, vcc_lo, v1, v3, vcc_lo
	v_mov_b32_e32 v5, v17
	v_mov_b32_e32 v7, v18
	v_mad_u64_u32 v[18:19], null, s2, v42, 0
	global_store_dwordx4 v[2:3], v[32:35], off
	v_mad_u64_u32 v[39:40], null, s3, v39, v[5:6]
	v_mov_b32_e32 v2, v38
	v_mov_b32_e32 v5, v36
	v_lshlrev_b64 v[6:7], 4, v[6:7]
	v_mad_u64_u32 v[2:3], null, s3, v41, v[2:3]
	v_lshlrev_b64 v[4:5], 4, v[4:5]
	v_mov_b32_e32 v3, v19
	v_mov_b32_e32 v17, v39
	v_add_co_u32 v6, vcc_lo, v0, v6
	v_add_co_ci_u32_e32 v7, vcc_lo, v1, v7, vcc_lo
	v_mad_u64_u32 v[32:33], null, s3, v42, v[3:4]
	v_mov_b32_e32 v38, v2
	v_lshlrev_b64 v[16:17], 4, v[16:17]
	v_add_co_u32 v2, vcc_lo, v0, v4
	v_add_co_ci_u32_e32 v3, vcc_lo, v1, v5, vcc_lo
	v_mov_b32_e32 v19, v32
	v_lshlrev_b64 v[4:5], 4, v[37:38]
	v_add_co_u32 v16, vcc_lo, v0, v16
	v_add_co_ci_u32_e32 v17, vcc_lo, v1, v17, vcc_lo
	v_lshlrev_b64 v[18:19], 4, v[18:19]
	v_add_co_u32 v4, vcc_lo, v0, v4
	v_add_co_ci_u32_e32 v5, vcc_lo, v1, v5, vcc_lo
	v_add_co_u32 v0, vcc_lo, v0, v18
	v_add_co_ci_u32_e32 v1, vcc_lo, v1, v19, vcc_lo
	global_store_dwordx4 v[6:7], v[28:31], off
	global_store_dwordx4 v[2:3], v[24:27], off
	;; [unrolled: 1-line block ×5, first 2 shown]
.LBB0_15:
	s_endpgm
	.section	.rodata,"a",@progbits
	.p2align	6, 0x0
	.amdhsa_kernel fft_rtc_fwd_len2401_factors_7_7_7_7_wgs_49_tpt_49_halfLds_dp_ip_CI_sbrr_dirReg
		.amdhsa_group_segment_fixed_size 0
		.amdhsa_private_segment_fixed_size 136
		.amdhsa_kernarg_size 88
		.amdhsa_user_sgpr_count 6
		.amdhsa_user_sgpr_private_segment_buffer 1
		.amdhsa_user_sgpr_dispatch_ptr 0
		.amdhsa_user_sgpr_queue_ptr 0
		.amdhsa_user_sgpr_kernarg_segment_ptr 1
		.amdhsa_user_sgpr_dispatch_id 0
		.amdhsa_user_sgpr_flat_scratch_init 0
		.amdhsa_user_sgpr_private_segment_size 0
		.amdhsa_wavefront_size32 1
		.amdhsa_uses_dynamic_stack 0
		.amdhsa_system_sgpr_private_segment_wavefront_offset 1
		.amdhsa_system_sgpr_workgroup_id_x 1
		.amdhsa_system_sgpr_workgroup_id_y 0
		.amdhsa_system_sgpr_workgroup_id_z 0
		.amdhsa_system_sgpr_workgroup_info 0
		.amdhsa_system_vgpr_workitem_id 0
		.amdhsa_next_free_vgpr 256
		.amdhsa_next_free_sgpr 32
		.amdhsa_reserve_vcc 1
		.amdhsa_reserve_flat_scratch 0
		.amdhsa_float_round_mode_32 0
		.amdhsa_float_round_mode_16_64 0
		.amdhsa_float_denorm_mode_32 3
		.amdhsa_float_denorm_mode_16_64 3
		.amdhsa_dx10_clamp 1
		.amdhsa_ieee_mode 1
		.amdhsa_fp16_overflow 0
		.amdhsa_workgroup_processor_mode 1
		.amdhsa_memory_ordered 1
		.amdhsa_forward_progress 0
		.amdhsa_shared_vgpr_count 0
		.amdhsa_exception_fp_ieee_invalid_op 0
		.amdhsa_exception_fp_denorm_src 0
		.amdhsa_exception_fp_ieee_div_zero 0
		.amdhsa_exception_fp_ieee_overflow 0
		.amdhsa_exception_fp_ieee_underflow 0
		.amdhsa_exception_fp_ieee_inexact 0
		.amdhsa_exception_int_div_zero 0
	.end_amdhsa_kernel
	.text
.Lfunc_end0:
	.size	fft_rtc_fwd_len2401_factors_7_7_7_7_wgs_49_tpt_49_halfLds_dp_ip_CI_sbrr_dirReg, .Lfunc_end0-fft_rtc_fwd_len2401_factors_7_7_7_7_wgs_49_tpt_49_halfLds_dp_ip_CI_sbrr_dirReg
                                        ; -- End function
	.section	.AMDGPU.csdata,"",@progbits
; Kernel info:
; codeLenInByte = 37172
; NumSgprs: 34
; NumVgprs: 256
; ScratchSize: 136
; MemoryBound: 1
; FloatMode: 240
; IeeeMode: 1
; LDSByteSize: 0 bytes/workgroup (compile time only)
; SGPRBlocks: 4
; VGPRBlocks: 31
; NumSGPRsForWavesPerEU: 34
; NumVGPRsForWavesPerEU: 256
; Occupancy: 4
; WaveLimiterHint : 1
; COMPUTE_PGM_RSRC2:SCRATCH_EN: 1
; COMPUTE_PGM_RSRC2:USER_SGPR: 6
; COMPUTE_PGM_RSRC2:TRAP_HANDLER: 0
; COMPUTE_PGM_RSRC2:TGID_X_EN: 1
; COMPUTE_PGM_RSRC2:TGID_Y_EN: 0
; COMPUTE_PGM_RSRC2:TGID_Z_EN: 0
; COMPUTE_PGM_RSRC2:TIDIG_COMP_CNT: 0
	.text
	.p2alignl 6, 3214868480
	.fill 48, 4, 3214868480
	.type	__hip_cuid_f934f1499fb7d6ce,@object ; @__hip_cuid_f934f1499fb7d6ce
	.section	.bss,"aw",@nobits
	.globl	__hip_cuid_f934f1499fb7d6ce
__hip_cuid_f934f1499fb7d6ce:
	.byte	0                               ; 0x0
	.size	__hip_cuid_f934f1499fb7d6ce, 1

	.ident	"AMD clang version 19.0.0git (https://github.com/RadeonOpenCompute/llvm-project roc-6.4.0 25133 c7fe45cf4b819c5991fe208aaa96edf142730f1d)"
	.section	".note.GNU-stack","",@progbits
	.addrsig
	.addrsig_sym __hip_cuid_f934f1499fb7d6ce
	.amdgpu_metadata
---
amdhsa.kernels:
  - .args:
      - .actual_access:  read_only
        .address_space:  global
        .offset:         0
        .size:           8
        .value_kind:     global_buffer
      - .offset:         8
        .size:           8
        .value_kind:     by_value
      - .actual_access:  read_only
        .address_space:  global
        .offset:         16
        .size:           8
        .value_kind:     global_buffer
      - .actual_access:  read_only
        .address_space:  global
        .offset:         24
        .size:           8
        .value_kind:     global_buffer
      - .offset:         32
        .size:           8
        .value_kind:     by_value
      - .actual_access:  read_only
        .address_space:  global
        .offset:         40
        .size:           8
        .value_kind:     global_buffer
      - .actual_access:  read_only
        .address_space:  global
        .offset:         48
        .size:           8
        .value_kind:     global_buffer
      - .offset:         56
        .size:           4
        .value_kind:     by_value
      - .actual_access:  read_only
        .address_space:  global
        .offset:         64
        .size:           8
        .value_kind:     global_buffer
      - .actual_access:  read_only
        .address_space:  global
        .offset:         72
        .size:           8
        .value_kind:     global_buffer
      - .address_space:  global
        .offset:         80
        .size:           8
        .value_kind:     global_buffer
    .group_segment_fixed_size: 0
    .kernarg_segment_align: 8
    .kernarg_segment_size: 88
    .language:       OpenCL C
    .language_version:
      - 2
      - 0
    .max_flat_workgroup_size: 49
    .name:           fft_rtc_fwd_len2401_factors_7_7_7_7_wgs_49_tpt_49_halfLds_dp_ip_CI_sbrr_dirReg
    .private_segment_fixed_size: 136
    .sgpr_count:     34
    .sgpr_spill_count: 0
    .symbol:         fft_rtc_fwd_len2401_factors_7_7_7_7_wgs_49_tpt_49_halfLds_dp_ip_CI_sbrr_dirReg.kd
    .uniform_work_group_size: 1
    .uses_dynamic_stack: false
    .vgpr_count:     256
    .vgpr_spill_count: 43
    .wavefront_size: 32
    .workgroup_processor_mode: 1
amdhsa.target:   amdgcn-amd-amdhsa--gfx1030
amdhsa.version:
  - 1
  - 2
...

	.end_amdgpu_metadata
